;; amdgpu-corpus repo=ROCm/rocFFT kind=compiled arch=gfx906 opt=O3
	.text
	.amdgcn_target "amdgcn-amd-amdhsa--gfx906"
	.amdhsa_code_object_version 6
	.protected	bluestein_single_back_len34_dim1_half_op_CI_CI ; -- Begin function bluestein_single_back_len34_dim1_half_op_CI_CI
	.globl	bluestein_single_back_len34_dim1_half_op_CI_CI
	.p2align	8
	.type	bluestein_single_back_len34_dim1_half_op_CI_CI,@function
bluestein_single_back_len34_dim1_half_op_CI_CI: ; @bluestein_single_back_len34_dim1_half_op_CI_CI
; %bb.0:
	v_mul_u32_u24_e32 v1, 0xf10, v0
	s_load_dwordx4 s[0:3], s[4:5], 0x28
	v_lshrrev_b32_e32 v3, 16, v1
	v_mad_u64_u32 v[1:2], s[6:7], s6, 15, v[3:4]
	v_mov_b32_e32 v2, 0
	s_waitcnt lgkmcnt(0)
	v_cmp_gt_u64_e32 vcc, s[0:1], v[1:2]
	s_and_saveexec_b64 s[0:1], vcc
	s_cbranch_execz .LBB0_15
; %bb.1:
	s_mov_b32 s0, 0x88888889
	v_mul_hi_u32 v2, v1, s0
	s_load_dwordx2 s[6:7], s[4:5], 0x0
	s_load_dwordx2 s[12:13], s[4:5], 0x38
	v_mul_lo_u16_e32 v3, 17, v3
	v_sub_u16_e32 v48, v0, v3
	v_lshrrev_b32_e32 v2, 3, v2
	v_mul_lo_u32 v2, v2, 15
	v_cmp_gt_u16_e32 vcc, 2, v48
	v_lshlrev_b32_e32 v31, 2, v48
	v_or_b32_e32 v46, 2, v48
	v_sub_u32_e32 v0, v1, v2
	v_mul_u32_u24_e32 v47, 34, v0
	v_or_b32_e32 v0, v47, v48
	v_lshlrev_b32_e32 v49, 2, v0
	v_or_b32_e32 v45, 4, v48
	v_or_b32_e32 v44, 6, v48
	;; [unrolled: 1-line block ×15, first 2 shown]
	s_and_saveexec_b64 s[14:15], vcc
	s_cbranch_execz .LBB0_3
; %bb.2:
	s_load_dwordx2 s[0:1], s[4:5], 0x18
	v_mov_b32_e32 v10, s3
	s_waitcnt lgkmcnt(0)
	s_load_dwordx4 s[8:11], s[0:1], 0x0
	s_waitcnt lgkmcnt(0)
	v_mad_u64_u32 v[2:3], s[0:1], s10, v1, 0
	v_mad_u64_u32 v[4:5], s[0:1], s8, v48, 0
	;; [unrolled: 1-line block ×5, first 2 shown]
	v_mov_b32_e32 v3, v6
	v_lshlrev_b64 v[2:3], 2, v[2:3]
	v_mov_b32_e32 v5, v7
	v_add_co_u32_e64 v30, s[0:1], s2, v2
	v_mov_b32_e32 v2, v9
	v_addc_co_u32_e64 v50, s[0:1], v10, v3, s[0:1]
	v_mad_u64_u32 v[2:3], s[0:1], s9, v46, v[2:3]
	v_mad_u64_u32 v[6:7], s[0:1], s8, v45, 0
	v_lshlrev_b64 v[4:5], 2, v[4:5]
	v_mov_b32_e32 v9, v2
	v_add_co_u32_e64 v3, s[0:1], v30, v4
	v_mov_b32_e32 v2, v7
	v_addc_co_u32_e64 v4, s[0:1], v50, v5, s[0:1]
	v_mad_u64_u32 v[10:11], s[0:1], s9, v45, v[2:3]
	v_mad_u64_u32 v[11:12], s[0:1], s8, v44, 0
	v_lshlrev_b64 v[8:9], 2, v[8:9]
	v_mov_b32_e32 v7, v10
	v_add_co_u32_e64 v8, s[0:1], v30, v8
	v_mov_b32_e32 v2, v12
	v_addc_co_u32_e64 v9, s[0:1], v50, v9, s[0:1]
	v_mad_u64_u32 v[12:13], s[0:1], s9, v44, v[2:3]
	v_mad_u64_u32 v[13:14], s[0:1], s8, v43, 0
	v_lshlrev_b64 v[5:6], 2, v[6:7]
	v_lshlrev_b64 v[10:11], 2, v[11:12]
	v_add_co_u32_e64 v5, s[0:1], v30, v5
	v_mov_b32_e32 v2, v14
	v_addc_co_u32_e64 v6, s[0:1], v50, v6, s[0:1]
	v_mad_u64_u32 v[14:15], s[0:1], s9, v43, v[2:3]
	v_mad_u64_u32 v[15:16], s[0:1], s8, v42, 0
	v_add_co_u32_e64 v10, s[0:1], v30, v10
	v_mov_b32_e32 v2, v16
	v_addc_co_u32_e64 v11, s[0:1], v50, v11, s[0:1]
	v_mad_u64_u32 v[16:17], s[0:1], s9, v42, v[2:3]
	v_mad_u64_u32 v[17:18], s[0:1], s8, v41, 0
	v_lshlrev_b64 v[12:13], 2, v[13:14]
	v_lshlrev_b64 v[14:15], 2, v[15:16]
	v_add_co_u32_e64 v12, s[0:1], v30, v12
	v_mov_b32_e32 v2, v18
	v_addc_co_u32_e64 v13, s[0:1], v50, v13, s[0:1]
	v_mad_u64_u32 v[18:19], s[0:1], s9, v41, v[2:3]
	v_mad_u64_u32 v[19:20], s[0:1], s8, v40, 0
	v_add_co_u32_e64 v14, s[0:1], v30, v14
	v_mov_b32_e32 v2, v20
	v_addc_co_u32_e64 v15, s[0:1], v50, v15, s[0:1]
	v_mad_u64_u32 v[20:21], s[0:1], s9, v40, v[2:3]
	v_mad_u64_u32 v[21:22], s[0:1], s8, v39, 0
	;; [unrolled: 12-line block ×3, first 2 shown]
	v_lshlrev_b64 v[20:21], 2, v[21:22]
	v_lshlrev_b64 v[22:23], 2, v[23:24]
	v_add_co_u32_e64 v20, s[0:1], v30, v20
	v_mov_b32_e32 v2, v26
	v_addc_co_u32_e64 v21, s[0:1], v50, v21, s[0:1]
	v_mad_u64_u32 v[26:27], s[0:1], s9, v37, v[2:3]
	v_mad_u64_u32 v[27:28], s[0:1], s8, v36, 0
	v_add_co_u32_e64 v22, s[0:1], v30, v22
	v_mov_b32_e32 v2, v28
	v_addc_co_u32_e64 v23, s[0:1], v50, v23, s[0:1]
	v_mad_u64_u32 v[28:29], s[0:1], s9, v36, v[2:3]
	v_lshlrev_b64 v[24:25], 2, v[25:26]
	v_lshlrev_b64 v[26:27], 2, v[27:28]
	global_load_dword v28, v[3:4], off
	global_load_dword v29, v31, s[6:7]
	global_load_dword v51, v[8:9], off
	global_load_dword v52, v31, s[6:7] offset:8
	global_load_dword v53, v[5:6], off
	global_load_dword v54, v31, s[6:7] offset:16
	global_load_dword v55, v[10:11], off
	global_load_dword v56, v31, s[6:7] offset:24
	v_add_co_u32_e64 v24, s[0:1], v30, v24
	v_addc_co_u32_e64 v25, s[0:1], v50, v25, s[0:1]
	v_mad_u64_u32 v[2:3], s[0:1], s8, v35, 0
	v_add_co_u32_e64 v26, s[0:1], v30, v26
	v_addc_co_u32_e64 v27, s[0:1], v50, v27, s[0:1]
	v_mad_u64_u32 v[7:8], s[0:1], s8, v34, 0
	v_mad_u64_u32 v[3:4], s[0:1], s9, v35, v[3:4]
	v_mov_b32_e32 v4, v8
	v_mad_u64_u32 v[4:5], s[0:1], s9, v34, v[4:5]
	v_lshlrev_b64 v[2:3], 2, v[2:3]
	global_load_dword v57, v[12:13], off
	global_load_dword v58, v31, s[6:7] offset:32
	v_add_co_u32_e64 v2, s[0:1], v30, v2
	v_addc_co_u32_e64 v3, s[0:1], v50, v3, s[0:1]
	v_mov_b32_e32 v8, v4
	v_mad_u64_u32 v[4:5], s[0:1], s8, v33, 0
	v_lshlrev_b64 v[6:7], 2, v[7:8]
	global_load_dword v59, v31, s[6:7] offset:40
	global_load_dword v60, v[14:15], off
	v_mad_u64_u32 v[8:9], s[0:1], s9, v33, v[5:6]
	v_mad_u64_u32 v[9:10], s[0:1], s8, v32, 0
	v_mov_b32_e32 v5, v8
	v_add_co_u32_e64 v6, s[0:1], v30, v6
	v_lshlrev_b64 v[4:5], 2, v[4:5]
	v_mov_b32_e32 v8, v10
	v_addc_co_u32_e64 v7, s[0:1], v50, v7, s[0:1]
	v_mad_u64_u32 v[10:11], s[0:1], s9, v32, v[8:9]
	v_add_co_u32_e64 v4, s[0:1], v30, v4
	global_load_dword v14, v[16:17], off
	global_load_dword v15, v31, s[6:7] offset:48
	v_addc_co_u32_e64 v5, s[0:1], v50, v5, s[0:1]
	v_mad_u64_u32 v[11:12], s[0:1], s8, v0, 0
	v_lshlrev_b64 v[8:9], 2, v[9:10]
	global_load_dword v16, v[18:19], off
	global_load_dword v17, v31, s[6:7] offset:56
	v_mov_b32_e32 v10, v12
	v_mad_u64_u32 v[12:13], s[0:1], s9, v0, v[10:11]
	global_load_dword v13, v[20:21], off
	global_load_dword v18, v31, s[6:7] offset:64
	v_add_co_u32_e64 v8, s[0:1], v30, v8
	v_lshlrev_b64 v[10:11], 2, v[11:12]
	global_load_dword v12, v[22:23], off
	global_load_dword v19, v31, s[6:7] offset:72
	global_load_dword v20, v[24:25], off
	global_load_dword v21, v31, s[6:7] offset:80
	v_addc_co_u32_e64 v9, s[0:1], v50, v9, s[0:1]
	v_add_co_u32_e64 v10, s[0:1], v30, v10
	v_addc_co_u32_e64 v11, s[0:1], v50, v11, s[0:1]
	s_waitcnt vmcnt(21)
	v_lshrrev_b32_e32 v22, 16, v28
	s_waitcnt vmcnt(20)
	v_mul_f16_sdwa v24, v29, v28 dst_sel:DWORD dst_unused:UNUSED_PAD src0_sel:WORD_1 src1_sel:DWORD
	v_mul_f16_sdwa v23, v29, v22 dst_sel:DWORD dst_unused:UNUSED_PAD src0_sel:WORD_1 src1_sel:DWORD
	v_fma_f16 v22, v29, v22, -v24
	global_load_dword v24, v[26:27], off
	global_load_dword v25, v31, s[6:7] offset:88
	v_fma_f16 v23, v29, v28, v23
	global_load_dword v28, v[2:3], off
	global_load_dword v29, v31, s[6:7] offset:96
	s_waitcnt vmcnt(23)
	v_lshrrev_b32_e32 v26, 16, v51
	s_waitcnt vmcnt(22)
	v_mul_f16_sdwa v27, v52, v26 dst_sel:DWORD dst_unused:UNUSED_PAD src0_sel:WORD_1 src1_sel:DWORD
	v_fma_f16 v27, v52, v51, v27
	v_mul_f16_sdwa v2, v52, v51 dst_sel:DWORD dst_unused:UNUSED_PAD src0_sel:WORD_1 src1_sel:DWORD
	global_load_dword v50, v[6:7], off
	global_load_dword v51, v31, s[6:7] offset:104
	v_pack_b32_f16 v6, v23, v22
	ds_write_b32 v49, v6
	s_waitcnt vmcnt(23)
	v_lshrrev_b32_e32 v3, 16, v53
	global_load_dword v6, v[4:5], off
	global_load_dword v7, v31, s[6:7] offset:112
	v_fma_f16 v2, v52, v26, -v2
	s_waitcnt vmcnt(24)
	v_mul_f16_sdwa v26, v54, v3 dst_sel:DWORD dst_unused:UNUSED_PAD src0_sel:WORD_1 src1_sel:DWORD
	v_mul_f16_sdwa v30, v54, v53 dst_sel:DWORD dst_unused:UNUSED_PAD src0_sel:WORD_1 src1_sel:DWORD
	v_fma_f16 v26, v54, v53, v26
	v_fma_f16 v3, v54, v3, -v30
	v_pack_b32_f16 v2, v27, v2
	v_pack_b32_f16 v3, v26, v3
	v_lshl_add_u32 v4, v47, 2, v31
	ds_write2_b32 v4, v2, v3 offset0:2 offset1:4
	global_load_dword v5, v[8:9], off
	global_load_dword v22, v31, s[6:7] offset:120
	s_waitcnt vmcnt(25)
	v_lshrrev_b32_e32 v2, 16, v55
	s_waitcnt vmcnt(24)
	v_mul_f16_sdwa v8, v56, v55 dst_sel:DWORD dst_unused:UNUSED_PAD src0_sel:WORD_1 src1_sel:DWORD
	v_mul_f16_sdwa v3, v56, v2 dst_sel:DWORD dst_unused:UNUSED_PAD src0_sel:WORD_1 src1_sel:DWORD
	v_fma_f16 v2, v56, v2, -v8
	global_load_dword v8, v[10:11], off
	global_load_dword v9, v31, s[6:7] offset:128
	s_waitcnt vmcnt(25)
	v_lshrrev_b32_e32 v10, 16, v57
	s_waitcnt vmcnt(24)
	v_mul_f16_sdwa v11, v58, v10 dst_sel:DWORD dst_unused:UNUSED_PAD src0_sel:WORD_1 src1_sel:DWORD
	v_mul_f16_sdwa v23, v58, v57 dst_sel:DWORD dst_unused:UNUSED_PAD src0_sel:WORD_1 src1_sel:DWORD
	v_fma_f16 v3, v56, v55, v3
	v_fma_f16 v11, v58, v57, v11
	v_fma_f16 v10, v58, v10, -v23
	v_pack_b32_f16 v2, v3, v2
	v_pack_b32_f16 v3, v11, v10
	ds_write2_b32 v4, v2, v3 offset0:6 offset1:8
	s_waitcnt vmcnt(22)
	v_lshrrev_b32_e32 v2, 16, v60
	v_mul_f16_sdwa v10, v59, v60 dst_sel:DWORD dst_unused:UNUSED_PAD src0_sel:WORD_1 src1_sel:DWORD
	v_mul_f16_sdwa v3, v59, v2 dst_sel:DWORD dst_unused:UNUSED_PAD src0_sel:WORD_1 src1_sel:DWORD
	v_fma_f16 v2, v59, v2, -v10
	v_fma_f16 v3, v59, v60, v3
	v_pack_b32_f16 v2, v3, v2
	s_waitcnt vmcnt(21)
	v_lshrrev_b32_e32 v10, 16, v14
	s_waitcnt vmcnt(20)
	v_mul_f16_sdwa v11, v15, v10 dst_sel:DWORD dst_unused:UNUSED_PAD src0_sel:WORD_1 src1_sel:DWORD
	v_fma_f16 v11, v15, v14, v11
	v_mul_f16_sdwa v14, v15, v14 dst_sel:DWORD dst_unused:UNUSED_PAD src0_sel:WORD_1 src1_sel:DWORD
	v_fma_f16 v10, v15, v10, -v14
	v_pack_b32_f16 v3, v11, v10
	ds_write2_b32 v4, v2, v3 offset0:10 offset1:12
	s_waitcnt vmcnt(19)
	v_lshrrev_b32_e32 v2, 16, v16
	s_waitcnt vmcnt(18)
	v_mul_f16_sdwa v10, v17, v16 dst_sel:DWORD dst_unused:UNUSED_PAD src0_sel:WORD_1 src1_sel:DWORD
	v_mul_f16_sdwa v3, v17, v2 dst_sel:DWORD dst_unused:UNUSED_PAD src0_sel:WORD_1 src1_sel:DWORD
	v_fma_f16 v2, v17, v2, -v10
	s_waitcnt vmcnt(17)
	v_lshrrev_b32_e32 v10, 16, v13
	s_waitcnt vmcnt(16)
	v_mul_f16_sdwa v11, v18, v10 dst_sel:DWORD dst_unused:UNUSED_PAD src0_sel:WORD_1 src1_sel:DWORD
	v_fma_f16 v11, v18, v13, v11
	v_mul_f16_sdwa v13, v18, v13 dst_sel:DWORD dst_unused:UNUSED_PAD src0_sel:WORD_1 src1_sel:DWORD
	v_fma_f16 v3, v17, v16, v3
	v_fma_f16 v10, v18, v10, -v13
	v_pack_b32_f16 v2, v3, v2
	v_pack_b32_f16 v3, v11, v10
	ds_write2_b32 v4, v2, v3 offset0:14 offset1:16
	s_waitcnt vmcnt(15)
	v_lshrrev_b32_e32 v2, 16, v12
	s_waitcnt vmcnt(14)
	v_mul_f16_sdwa v10, v19, v12 dst_sel:DWORD dst_unused:UNUSED_PAD src0_sel:WORD_1 src1_sel:DWORD
	v_mul_f16_sdwa v3, v19, v2 dst_sel:DWORD dst_unused:UNUSED_PAD src0_sel:WORD_1 src1_sel:DWORD
	v_fma_f16 v2, v19, v2, -v10
	s_waitcnt vmcnt(13)
	v_lshrrev_b32_e32 v10, 16, v20
	v_fma_f16 v3, v19, v12, v3
	s_waitcnt vmcnt(12)
	v_mul_f16_sdwa v11, v21, v10 dst_sel:DWORD dst_unused:UNUSED_PAD src0_sel:WORD_1 src1_sel:DWORD
	v_mul_f16_sdwa v12, v21, v20 dst_sel:DWORD dst_unused:UNUSED_PAD src0_sel:WORD_1 src1_sel:DWORD
	v_fma_f16 v11, v21, v20, v11
	v_fma_f16 v10, v21, v10, -v12
	v_pack_b32_f16 v2, v3, v2
	v_pack_b32_f16 v3, v11, v10
	ds_write2_b32 v4, v2, v3 offset0:18 offset1:20
	s_waitcnt vmcnt(11)
	v_lshrrev_b32_e32 v2, 16, v24
	s_waitcnt vmcnt(10)
	v_mul_f16_sdwa v10, v25, v24 dst_sel:DWORD dst_unused:UNUSED_PAD src0_sel:WORD_1 src1_sel:DWORD
	v_mul_f16_sdwa v3, v25, v2 dst_sel:DWORD dst_unused:UNUSED_PAD src0_sel:WORD_1 src1_sel:DWORD
	v_fma_f16 v2, v25, v2, -v10
	s_waitcnt vmcnt(9)
	v_lshrrev_b32_e32 v10, 16, v28
	s_waitcnt vmcnt(8)
	v_mul_f16_sdwa v11, v29, v10 dst_sel:DWORD dst_unused:UNUSED_PAD src0_sel:WORD_1 src1_sel:DWORD
	v_mul_f16_sdwa v12, v29, v28 dst_sel:DWORD dst_unused:UNUSED_PAD src0_sel:WORD_1 src1_sel:DWORD
	v_fma_f16 v3, v25, v24, v3
	v_fma_f16 v11, v29, v28, v11
	v_fma_f16 v10, v29, v10, -v12
	v_pack_b32_f16 v2, v3, v2
	v_pack_b32_f16 v3, v11, v10
	ds_write2_b32 v4, v2, v3 offset0:22 offset1:24
	s_waitcnt vmcnt(7)
	v_lshrrev_b32_e32 v2, 16, v50
	s_waitcnt vmcnt(6)
	v_mul_f16_sdwa v10, v51, v50 dst_sel:DWORD dst_unused:UNUSED_PAD src0_sel:WORD_1 src1_sel:DWORD
	v_mul_f16_sdwa v3, v51, v2 dst_sel:DWORD dst_unused:UNUSED_PAD src0_sel:WORD_1 src1_sel:DWORD
	v_fma_f16 v2, v51, v2, -v10
	s_waitcnt vmcnt(5)
	v_lshrrev_b32_e32 v10, 16, v6
	s_waitcnt vmcnt(4)
	v_mul_f16_sdwa v11, v7, v10 dst_sel:DWORD dst_unused:UNUSED_PAD src0_sel:WORD_1 src1_sel:DWORD
	v_fma_f16 v11, v7, v6, v11
	v_mul_f16_sdwa v6, v7, v6 dst_sel:DWORD dst_unused:UNUSED_PAD src0_sel:WORD_1 src1_sel:DWORD
	v_fma_f16 v3, v51, v50, v3
	v_fma_f16 v6, v7, v10, -v6
	v_pack_b32_f16 v2, v3, v2
	v_pack_b32_f16 v3, v11, v6
	ds_write2_b32 v4, v2, v3 offset0:26 offset1:28
	s_waitcnt vmcnt(3)
	v_lshrrev_b32_e32 v2, 16, v5
	s_waitcnt vmcnt(2)
	v_mul_f16_sdwa v3, v22, v2 dst_sel:DWORD dst_unused:UNUSED_PAD src0_sel:WORD_1 src1_sel:DWORD
	v_fma_f16 v3, v22, v5, v3
	v_mul_f16_sdwa v5, v22, v5 dst_sel:DWORD dst_unused:UNUSED_PAD src0_sel:WORD_1 src1_sel:DWORD
	v_fma_f16 v2, v22, v2, -v5
	s_waitcnt vmcnt(1)
	v_lshrrev_b32_e32 v5, 16, v8
	s_waitcnt vmcnt(0)
	v_mul_f16_sdwa v6, v9, v5 dst_sel:DWORD dst_unused:UNUSED_PAD src0_sel:WORD_1 src1_sel:DWORD
	v_mul_f16_sdwa v7, v9, v8 dst_sel:DWORD dst_unused:UNUSED_PAD src0_sel:WORD_1 src1_sel:DWORD
	v_fma_f16 v6, v9, v8, v6
	v_fma_f16 v5, v9, v5, -v7
	v_pack_b32_f16 v2, v3, v2
	v_pack_b32_f16 v3, v6, v5
	ds_write2_b32 v4, v2, v3 offset0:30 offset1:32
.LBB0_3:
	s_or_b64 exec, exec, s[14:15]
	s_load_dwordx2 s[2:3], s[4:5], 0x20
	s_load_dwordx2 s[0:1], s[4:5], 0x8
	v_mov_b32_e32 v67, 0
	v_lshlrev_b32_e32 v50, 2, v47
	s_waitcnt lgkmcnt(0)
	s_barrier
	s_waitcnt lgkmcnt(0)
                                        ; implicit-def: $vgpr13
                                        ; implicit-def: $vgpr14
                                        ; implicit-def: $vgpr17
                                        ; implicit-def: $vgpr20
                                        ; implicit-def: $vgpr19
                                        ; implicit-def: $vgpr22
                                        ; implicit-def: $vgpr66
                                        ; implicit-def: $vgpr29
                                        ; implicit-def: $vgpr27
                                        ; implicit-def: $vgpr24
	s_and_saveexec_b64 s[4:5], vcc
	s_cbranch_execz .LBB0_5
; %bb.4:
	v_lshl_add_u32 v2, v48, 2, v50
	ds_read2_b32 v[24:25], v2 offset0:2 offset1:4
	ds_read2_b32 v[18:19], v2 offset0:6 offset1:8
	;; [unrolled: 1-line block ×8, first 2 shown]
	ds_read_b32 v67, v49
	s_waitcnt lgkmcnt(8)
	v_alignbit_b32 v66, v25, v25, 16
	s_waitcnt lgkmcnt(1)
	v_alignbit_b32 v29, v26, v26, 16
.LBB0_5:
	s_or_b64 exec, exec, s[4:5]
	v_pk_add_f16 v53, v27, v24 op_sel:[1,1] op_sel_hi:[0,0]
	v_pk_add_f16 v26, v24, v27 op_sel:[1,1] op_sel_hi:[0,0] neg_lo:[0,1] neg_hi:[0,1]
	v_lshrrev_b32_e32 v69, 16, v53
	s_movk_i32 s9, 0x3b76
	v_mul_f16_e32 v68, 0xb5c8, v26
	v_mul_f16_e32 v57, 0xb964, v26
	s_movk_i32 s8, 0x39e9
	s_movk_i32 s4, 0x2de8
	v_pk_add_f16 v25, v66, v29
	v_fma_f16 v2, v69, s9, v68
	s_mov_b32 s11, 0xb964
	v_fma_f16 v3, v69, s8, v57
	s_mov_b32 s19, 0xbbf7
	v_pk_add_f16 v71, v66, v29 neg_lo:[0,1] neg_hi:[0,1]
	v_mul_f16_sdwa v70, v25, s8 dst_sel:DWORD dst_unused:UNUSED_PAD src0_sel:WORD_1 src1_sel:DWORD
	v_mul_f16_sdwa v62, v25, s4 dst_sel:DWORD dst_unused:UNUSED_PAD src0_sel:WORD_1 src1_sel:DWORD
	v_pk_add_f16 v28, v18, v23
	v_pk_add_f16 v55, v18, v23 neg_lo:[0,1] neg_hi:[0,1]
	s_mov_b32 s14, 0xbb29
	s_mov_b32 s17, 0xba62
	v_fma_f16 v4, v71, s11, v70
	v_fma_f16 v5, v71, s19, v62
	v_mul_f16_e32 v72, 0x3722, v28
	v_lshrrev_b32_e32 v73, 16, v55
	v_mul_f16_e32 v60, 0xb8d2, v28
	v_pk_add_f16 v30, v19, v22
	v_pk_add_f16 v56, v19, v22 neg_lo:[0,1] neg_hi:[0,1]
	s_waitcnt lgkmcnt(0)
	v_add_f16_e32 v2, v2, v67
	v_add_f16_e32 v3, v3, v67
	s_mov_b32 s15, 0xb1e1
	v_fma_f16 v6, v73, s14, v72
	v_fma_f16 v7, v73, s17, v60
	v_mul_f16_e32 v74, 0x2de8, v30
	v_lshrrev_b32_e32 v75, 16, v56
	v_mul_f16_e32 v61, 0xbbdd, v30
	v_pk_add_f16 v51, v16, v21
	v_pk_add_f16 v54, v16, v21 neg_lo:[0,1] neg_hi:[0,1]
	v_add_f16_e32 v2, v4, v2
	v_add_f16_e32 v3, v5, v3
	s_mov_b32 s5, 0xbbb2
	s_movk_i32 s21, 0x3836
	v_fma_f16 v8, v75, s19, v74
	v_fma_f16 v9, v75, s15, v61
	v_mul_f16_e32 v76, 0xb461, v51
	v_lshrrev_b32_e32 v77, 16, v54
	v_mul_f16_e32 v59, 0xbacd, v51
	v_pk_add_f16 v64, v17, v20
	v_pk_add_f16 v52, v17, v20 neg_lo:[0,1] neg_hi:[0,1]
	v_add_f16_e32 v2, v6, v2
	v_add_f16_e32 v3, v7, v3
	s_movk_i32 s10, 0x3bb2
	v_fma_f16 v10, v77, s5, v76
	v_fma_f16 v11, v77, s21, v59
	v_mul_f16_e32 v78, 0xb8d2, v64
	v_lshrrev_b32_e32 v79, 16, v52
	v_mul_f16_e32 v58, 0xb461, v64
	v_pk_add_f16 v65, v12, v15
	v_pk_add_f16 v63, v12, v15 neg_lo:[0,1] neg_hi:[0,1]
	v_add_f16_e32 v2, v8, v2
	v_add_f16_e32 v3, v9, v3
	s_mov_b32 s16, 0xb836
	s_movk_i32 s20, 0x3b29
	v_fma_f16 v82, v79, s17, v78
	v_fma_f16 v4, v79, s10, v58
	v_mul_f16_e32 v80, 0xbacd, v65
	v_lshrrev_b32_e32 v81, 16, v63
	v_add_f16_e32 v2, v10, v2
	v_mul_f16_e32 v87, 0x3722, v65
	v_add_f16_e32 v3, v11, v3
	v_pk_add_f16 v83, v13, v14
	v_pk_add_f16 v84, v13, v14 neg_lo:[0,1] neg_hi:[0,1]
	v_fma_f16 v5, v81, s16, v80
	v_fma_f16 v6, v81, s20, v87
	v_add_f16_e32 v2, v82, v2
	v_add_f16_e32 v3, v4, v3
	v_mul_f16_e32 v82, 0xbbdd, v83
	v_lshrrev_b32_e32 v85, 16, v84
	s_movk_i32 s18, 0x35c8
	v_add_f16_e32 v2, v5, v2
	v_add_f16_e32 v4, v6, v3
	v_fma_f16 v3, v85, s15, v82
	v_mul_f16_e32 v86, 0x3b76, v83
	v_add_f16_e32 v3, v3, v2
	v_fma_f16 v2, v85, s18, v86
	s_movk_i32 s23, 0x3722
	s_mov_b32 s24, 0xb8d2
	v_mul_f16_e32 v6, 0xbb29, v26
	v_add_f16_e32 v2, v2, v4
	s_movk_i32 s30, 0x3a62
	v_fma_f16 v4, v69, s23, -v6
	v_mul_f16_sdwa v7, v25, s24 dst_sel:DWORD dst_unused:UNUSED_PAD src0_sel:WORD_1 src1_sel:DWORD
	v_add_f16_e32 v4, v4, v67
	v_fma_f16 v5, v71, s30, v7
	s_mov_b32 s25, 0xbbdd
	v_mul_f16_e32 v8, 0xbbf7, v26
	v_add_f16_e32 v4, v5, v4
	s_movk_i32 s27, 0x31e1
	v_fma_f16 v5, v69, s4, -v8
	v_mul_f16_sdwa v9, v25, s25 dst_sel:DWORD dst_unused:UNUSED_PAD src0_sel:WORD_1 src1_sel:DWORD
	v_add_f16_e32 v5, v5, v67
	v_fma_f16 v10, v71, s27, v9
	v_add_f16_e32 v5, v10, v5
	v_mul_f16_e32 v10, 0xbbdd, v28
	v_fma_f16 v11, v73, s15, v10
	v_add_f16_e32 v4, v11, v4
	v_mul_f16_e32 v11, 0xb461, v28
	;; [unrolled: 3-line block ×3, first 2 shown]
	v_fma_f16 v89, v75, s5, v88
	v_add_f16_e32 v4, v89, v4
	s_mov_b32 s22, 0xb5c8
	v_mul_f16_e32 v89, 0x3b76, v30
	v_fma_f16 v90, v75, s22, v89
	v_add_f16_e32 v5, v90, v5
	v_mul_f16_e32 v90, 0x39e9, v51
	v_fma_f16 v91, v77, s11, v90
	v_fma_f16 v6, v69, s23, v6
	v_add_f16_e32 v4, v91, v4
	v_mul_f16_e32 v91, 0x3722, v51
	v_fma_f16 v7, v71, s17, v7
	v_add_f16_e32 v6, v6, v67
	v_fma_f16 v92, v77, s20, v91
	v_add_f16_e32 v6, v7, v6
	;; [unrolled: 2-line block ×3, first 2 shown]
	v_mul_f16_e32 v92, 0x3b76, v64
	v_fma_f16 v8, v71, s15, v9
	v_add_f16_e32 v7, v7, v67
	v_fma_f16 v93, v79, s18, v92
	v_add_f16_e32 v7, v8, v7
	;; [unrolled: 2-line block ×3, first 2 shown]
	v_mul_f16_e32 v93, 0xbacd, v64
	v_add_f16_e32 v6, v8, v6
	v_fma_f16 v8, v73, s10, v11
	v_fma_f16 v94, v79, s21, v93
	v_add_f16_e32 v7, v8, v7
	v_fma_f16 v8, v75, s10, v88
	v_add_f16_e32 v5, v94, v5
	s_movk_i32 s31, 0x3bf7
	v_mul_f16_e32 v94, 0x2de8, v65
	v_add_f16_e32 v6, v8, v6
	v_fma_f16 v8, v75, s18, v89
	s_movk_i32 s29, 0x3964
	v_fma_f16 v95, v81, s31, v94
	v_add_f16_e32 v7, v8, v7
	v_fma_f16 v8, v77, s29, v90
	v_add_f16_e32 v4, v95, v4
	v_mul_f16_e32 v95, 0xb8d2, v65
	v_add_f16_e32 v6, v8, v6
	v_fma_f16 v8, v77, s14, v91
	v_fma_f16 v96, v81, s17, v95
	v_add_f16_e32 v7, v8, v7
	v_fma_f16 v8, v79, s22, v92
	v_add_f16_e32 v5, v96, v5
	v_mul_f16_e32 v96, 0xbacd, v83
	v_add_f16_e32 v6, v8, v6
	v_fma_f16 v8, v79, s16, v93
	;; [unrolled: 7-line block ×3, first 2 shown]
	v_add_f16_e32 v8, v8, v7
	v_fma_f16 v7, v85, s16, v96
	v_fma_f16 v9, v85, s29, v97
	s_mov_b32 s26, 0xb461
	s_mov_b32 s28, 0xbacd
	v_mul_f16_e32 v10, 0xbbb2, v26
	v_add_f16_e32 v7, v7, v6
	v_add_f16_e32 v6, v9, v8
	v_fma_f16 v8, v69, s26, -v10
	v_mul_f16_sdwa v11, v25, s28 dst_sel:DWORD dst_unused:UNUSED_PAD src0_sel:WORD_1 src1_sel:DWORD
	v_add_f16_e32 v8, v8, v67
	v_fma_f16 v9, v71, s16, v11
	v_mul_f16_e32 v88, 0xba62, v26
	v_add_f16_e32 v8, v9, v8
	v_fma_f16 v9, v69, s24, -v88
	v_mul_f16_sdwa v89, v25, s26 dst_sel:DWORD dst_unused:UNUSED_PAD src0_sel:WORD_1 src1_sel:DWORD
	v_add_f16_e32 v9, v9, v67
	v_fma_f16 v90, v71, s5, v89
	v_add_f16_e32 v9, v90, v9
	v_mul_f16_e32 v90, 0x39e9, v28
	v_fma_f16 v91, v73, s11, v90
	v_add_f16_e32 v8, v91, v8
	v_mul_f16_e32 v91, 0x3b76, v28
	;; [unrolled: 3-line block ×5, first 2 shown]
	v_fma_f16 v95, v77, s27, v94
	v_fma_f16 v10, v69, s26, v10
	v_add_f16_e32 v8, v95, v8
	v_mul_f16_e32 v95, 0x2de8, v51
	v_fma_f16 v11, v71, s21, v11
	v_add_f16_e32 v10, v10, v67
	v_fma_f16 v96, v77, s19, v95
	v_add_f16_e32 v10, v11, v10
	;; [unrolled: 2-line block ×3, first 2 shown]
	v_mul_f16_e32 v96, 0x2de8, v64
	v_fma_f16 v88, v71, s10, v89
	v_add_f16_e32 v11, v11, v67
	v_fma_f16 v98, v85, s11, v97
	v_fma_f16 v97, v79, s19, v96
	v_add_f16_e32 v11, v88, v11
	v_fma_f16 v88, v73, s29, v90
	v_add_f16_e32 v8, v97, v8
	v_mul_f16_e32 v97, 0x39e9, v64
	v_add_f16_e32 v10, v88, v10
	v_fma_f16 v88, v73, s22, v91
	v_add_f16_e32 v5, v98, v5
	v_fma_f16 v98, v79, s29, v97
	;; [unrolled: 2-line block ×3, first 2 shown]
	v_add_f16_e32 v9, v98, v9
	v_mul_f16_e32 v98, 0x3b76, v65
	v_add_f16_e32 v10, v88, v10
	v_fma_f16 v88, v75, s16, v93
	v_fma_f16 v99, v81, s18, v98
	v_add_f16_e32 v11, v88, v11
	v_fma_f16 v88, v77, s15, v94
	v_add_f16_e32 v8, v99, v8
	v_mul_f16_e32 v99, 0xbbdd, v65
	v_add_f16_e32 v10, v88, v10
	v_fma_f16 v88, v77, s31, v95
	v_fma_f16 v100, v81, s27, v99
	v_add_f16_e32 v11, v88, v11
	v_fma_f16 v88, v79, s31, v96
	;; [unrolled: 7-line block ×3, first 2 shown]
	v_add_f16_e32 v8, v101, v8
	v_mul_f16_e32 v101, 0x3722, v83
	v_add_f16_e32 v10, v88, v10
	v_fma_f16 v88, v81, s15, v99
	v_add_f16_e32 v88, v88, v11
	v_fma_f16 v11, v85, s17, v100
	v_fma_f16 v89, v85, s20, v101
	v_add_f16_e32 v11, v11, v10
	v_add_f16_e32 v10, v89, v88
	v_mul_f16_sdwa v88, v26, s11 dst_sel:DWORD dst_unused:UNUSED_PAD src0_sel:WORD_1 src1_sel:DWORD
	v_fma_f16 v89, v53, s8, v88
	v_fma_f16 v90, v53, s8, -v88
	v_mul_f16_sdwa v88, v26, s14 dst_sel:DWORD dst_unused:UNUSED_PAD src0_sel:WORD_1 src1_sel:DWORD
	v_fma_f16 v91, v53, s23, v88
	v_fma_f16 v92, v53, s23, -v88
	;; [unrolled: 3-line block ×5, first 2 shown]
	v_mul_f16_sdwa v88, v26, s16 dst_sel:DWORD dst_unused:UNUSED_PAD src0_sel:WORD_1 src1_sel:DWORD
	v_fma_f16 v102, v85, s14, v101
	v_fma_f16 v99, v53, s28, v88
	v_fma_f16 v100, v53, s28, -v88
	v_mul_f16_sdwa v88, v26, s15 dst_sel:DWORD dst_unused:UNUSED_PAD src0_sel:WORD_1 src1_sel:DWORD
	s_mov_b32 s34, 0xb5c8b1e1
	v_add_f16_e32 v9, v102, v9
	v_fma_f16 v101, v53, s25, v88
	v_fma_f16 v102, v53, s25, -v88
	s_mov_b32 s33, 0xbbdd3b76
	v_pk_mul_f16 v88, v26, s34
	v_pk_fma_f16 v103, v53, s33, v88 op_sel:[0,0,1] op_sel_hi:[1,1,0] neg_lo:[0,0,1] neg_hi:[0,0,1]
	v_pk_fma_f16 v88, v53, s33, v88 op_sel:[0,0,1] op_sel_hi:[1,1,0]
	v_fma_f16 v53, v69, s8, -v57
	v_fma_f16 v57, v71, s31, v62
	v_add_f16_e32 v53, v53, v67
	v_mul_f16_sdwa v62, v71, s19 dst_sel:DWORD dst_unused:UNUSED_PAD src0_sel:WORD_1 src1_sel:DWORD
	v_add_f16_e32 v53, v57, v53
	v_add_f16_sdwa v57, v89, v67 dst_sel:DWORD dst_unused:UNUSED_PAD src0_sel:DWORD src1_sel:WORD_1
	v_fma_f16 v89, v25, s4, v62
	v_add_f16_e32 v57, v89, v57
	v_fma_f16 v62, v25, s4, -v62
	v_add_f16_sdwa v89, v90, v67 dst_sel:DWORD dst_unused:UNUSED_PAD src0_sel:DWORD src1_sel:WORD_1
	v_mul_f16_sdwa v90, v71, s17 dst_sel:DWORD dst_unused:UNUSED_PAD src0_sel:WORD_1 src1_sel:DWORD
	v_add_f16_e32 v62, v62, v89
	v_add_f16_sdwa v89, v91, v67 dst_sel:DWORD dst_unused:UNUSED_PAD src0_sel:DWORD src1_sel:WORD_1
	v_fma_f16 v91, v25, s24, v90
	v_add_f16_e32 v91, v91, v89
	v_fma_f16 v89, v25, s24, -v90
	v_add_f16_sdwa v90, v92, v67 dst_sel:DWORD dst_unused:UNUSED_PAD src0_sel:DWORD src1_sel:WORD_1
	;; [unrolled: 7-line block ×5, first 2 shown]
	v_mul_f16_e32 v26, 0xb836, v26
	v_add_f16_e32 v96, v89, v96
	v_fma_f16 v89, v69, s28, -v26
	v_mul_f16_sdwa v98, v25, s23 dst_sel:DWORD dst_unused:UNUSED_PAD src0_sel:WORD_1 src1_sel:DWORD
	v_add_f16_e32 v89, v89, v67
	v_fma_f16 v104, v71, s14, v98
	v_add_f16_e32 v104, v104, v89
	v_add_f16_sdwa v89, v99, v67 dst_sel:DWORD dst_unused:UNUSED_PAD src0_sel:DWORD src1_sel:WORD_1
	v_mul_f16_sdwa v99, v71, s20 dst_sel:DWORD dst_unused:UNUSED_PAD src0_sel:WORD_1 src1_sel:DWORD
	v_fma_f16 v105, v25, s23, v99
	v_fma_f16 v26, v69, s28, v26
	v_add_f16_e32 v105, v105, v89
	v_fma_f16 v89, v71, s20, v98
	v_add_f16_e32 v26, v26, v67
	v_add_f16_e32 v26, v89, v26
	v_fma_f16 v89, v25, s23, -v99
	v_add_f16_sdwa v98, v100, v67 dst_sel:DWORD dst_unused:UNUSED_PAD src0_sel:DWORD src1_sel:WORD_1
	s_mov_b32 s21, 0xb96435c8
	v_add_f16_e32 v98, v89, v98
	s_mov_b32 s20, 0x3b7639e9
	v_pk_mul_f16 v89, v71, s21
	v_pk_add_f16 v99, v103, v67 op_sel:[0,1] op_sel_hi:[1,0]
	v_pk_fma_f16 v100, v25, s20, v89 op_sel:[0,0,1] op_sel_hi:[1,1,0] neg_lo:[0,0,1] neg_hi:[0,0,1]
	v_pk_add_f16 v99, v100, v99
	v_add_f16_sdwa v100, v102, v67 dst_sel:DWORD dst_unused:UNUSED_PAD src0_sel:DWORD src1_sel:WORD_1
	v_mul_f16_sdwa v102, v71, s18 dst_sel:DWORD dst_unused:UNUSED_PAD src0_sel:WORD_1 src1_sel:DWORD
	v_fma_f16 v103, v25, s9, -v102
	v_fma_f16 v60, v73, s30, v60
	v_add_f16_e32 v100, v103, v100
	v_add_f16_e32 v53, v60, v53
	v_lshrrev_b32_e32 v103, 16, v28
	v_mul_f16_e32 v60, 0xba62, v55
	v_fma_f16 v106, v103, s24, v60
	v_fma_f16 v60, v103, s24, -v60
	v_add_f16_e32 v60, v60, v62
	v_mul_f16_e32 v62, 0x31e1, v55
	v_add_f16_e32 v57, v106, v57
	v_fma_f16 v106, v103, s25, v62
	v_fma_f16 v62, v103, s25, -v62
	v_add_f16_e32 v62, v62, v90
	v_mul_f16_e32 v90, 0x3bb2, v55
	v_add_f16_e32 v91, v106, v91
	;; [unrolled: 5-line block ×5, first 2 shown]
	v_fma_f16 v106, v73, s31, v90
	v_add_f16_e32 v104, v106, v104
	v_mul_f16_e32 v106, 0xbbf7, v55
	v_fma_f16 v90, v73, s19, v90
	v_add_f16_e32 v26, v90, v26
	v_fma_f16 v90, v103, s4, -v106
	s_mov_b32 s21, 0xb836bb29
	v_add_f16_e32 v98, v90, v98
	s_mov_b32 s19, 0x3722bacd
	v_pk_mul_f16 v90, v55, s21
	v_fma_f16 v107, v103, s4, v106
	v_pk_fma_f16 v106, v28, s19, v90 op_sel:[0,0,1] op_sel_hi:[1,1,0] neg_lo:[0,0,1] neg_hi:[0,0,1]
	v_pk_add_f16 v99, v106, v99 op_sel:[1,0] op_sel_hi:[0,1]
	v_mul_f16_e32 v106, 0xb836, v55
	v_fma_f16 v55, v103, s28, -v106
	v_fma_f16 v61, v75, s27, v61
	v_add_f16_e32 v55, v55, v100
	v_add_f16_e32 v53, v61, v53
	v_lshrrev_b32_e32 v100, 16, v30
	v_mul_f16_e32 v61, 0xb1e1, v56
	v_add_f16_e32 v105, v107, v105
	v_fma_f16 v107, v100, s25, v61
	v_fma_f16 v61, v100, s25, -v61
	v_add_f16_e32 v60, v61, v60
	v_mul_f16_e32 v61, 0x3bb2, v56
	v_add_f16_e32 v57, v107, v57
	v_fma_f16 v107, v100, s26, v61
	v_fma_f16 v61, v100, s26, -v61
	v_add_f16_e32 v61, v61, v62
	v_mul_f16_e32 v62, 0x35c8, v56
	v_add_f16_e32 v107, v107, v91
	v_fma_f16 v91, v100, s9, v62
	v_add_f16_e32 v93, v91, v93
	v_fma_f16 v62, v100, s9, -v62
	v_mul_f16_e32 v91, 0xbb29, v56
	v_add_f16_e32 v62, v62, v92
	v_fma_f16 v92, v100, s23, v91
	v_fma_f16 v91, v100, s23, -v91
	v_add_f16_e32 v94, v91, v94
	v_mul_f16_e32 v91, 0xb836, v56
	v_add_f16_e32 v92, v92, v95
	v_fma_f16 v95, v100, s28, v91
	v_fma_f16 v91, v100, s28, -v91
	v_add_f16_e32 v96, v91, v96
	v_mul_f16_e32 v91, 0xb8d2, v30
	v_add_f16_e32 v95, v95, v97
	v_fma_f16 v97, v75, s17, v91
	v_add_f16_e32 v97, v97, v104
	v_mul_f16_e32 v104, 0x3a62, v56
	v_fma_f16 v91, v75, s30, v91
	v_add_f16_e32 v26, v91, v26
	v_fma_f16 v91, v100, s24, -v104
	s_mov_b32 s21, 0x3964bbf7
	v_add_f16_e32 v98, v91, v98
	s_mov_b32 s17, 0x2de839e9
	v_pk_mul_f16 v91, v56, s21
	v_fma_f16 v108, v100, s24, v104
	v_pk_fma_f16 v104, v30, s17, v91 op_sel:[0,0,1] op_sel_hi:[1,1,0] neg_lo:[0,0,1] neg_hi:[0,0,1]
	v_pk_add_f16 v99, v104, v99 op_sel:[1,0] op_sel_hi:[0,1]
	v_mul_f16_e32 v104, 0x3964, v56
	v_fma_f16 v56, v100, s8, -v104
	v_add_f16_e32 v55, v56, v55
	v_fma_f16 v56, v77, s16, v59
	v_add_f16_e32 v105, v108, v105
	v_add_f16_e32 v53, v56, v53
	v_lshrrev_b32_e32 v108, 16, v51
	v_mul_f16_e32 v56, 0x3836, v54
	v_fma_f16 v59, v108, s28, v56
	v_add_f16_e32 v57, v59, v57
	v_fma_f16 v56, v108, s28, -v56
	v_mul_f16_e32 v59, 0x3964, v54
	v_add_f16_e32 v56, v56, v60
	v_fma_f16 v60, v108, s8, v59
	v_fma_f16 v59, v108, s8, -v59
	v_add_f16_e32 v59, v59, v61
	v_mul_f16_e32 v61, 0xbb29, v54
	v_add_f16_e32 v60, v60, v107
	v_fma_f16 v107, v108, s23, v61
	v_fma_f16 v61, v108, s23, -v61
	v_add_f16_e32 v61, v61, v62
	v_mul_f16_e32 v62, 0xb1e1, v54
	v_add_f16_e32 v93, v107, v93
	v_fma_f16 v107, v108, s25, v62
	v_add_f16_e32 v107, v107, v92
	v_fma_f16 v62, v108, s25, -v62
	v_mul_f16_e32 v92, 0x3bf7, v54
	v_add_f16_e32 v62, v62, v94
	v_fma_f16 v94, v108, s4, v92
	v_fma_f16 v92, v108, s4, -v92
	v_add_f16_e32 v94, v94, v95
	v_add_f16_e32 v95, v92, v96
	v_mul_f16_e32 v92, 0x3b76, v51
	v_fma_f16 v96, v77, s18, v92
	v_add_f16_e32 v96, v96, v97
	v_mul_f16_e32 v97, 0xb5c8, v54
	v_fma_f16 v92, v77, s22, v92
	v_add_f16_e32 v26, v92, v26
	v_fma_f16 v92, v108, s9, -v97
	s_mov_b32 s18, 0xba62bbb2
	v_fma_f16 v109, v108, s9, v97
	v_add_f16_e32 v97, v92, v98
	s_mov_b32 s16, 0xb461b8d2
	v_pk_mul_f16 v92, v54, s18
	v_pk_fma_f16 v98, v51, s16, v92 op_sel:[0,0,1] op_sel_hi:[1,1,0] neg_lo:[0,0,1] neg_hi:[0,0,1]
	v_pk_add_f16 v98, v98, v99 op_sel:[1,0] op_sel_hi:[0,1]
	v_mul_f16_e32 v99, 0xba62, v54
	v_fma_f16 v54, v108, s24, -v99
	v_add_f16_e32 v54, v54, v55
	v_fma_f16 v55, v79, s5, v58
	v_add_f16_e32 v105, v109, v105
	v_add_f16_e32 v53, v55, v53
	v_lshrrev_b32_e32 v109, 16, v64
	v_mul_f16_e32 v55, 0x3bb2, v52
	v_fma_f16 v58, v109, s26, v55
	v_fma_f16 v55, v109, s26, -v55
	v_add_f16_e32 v55, v55, v56
	v_mul_f16_e32 v56, 0xb5c8, v52
	v_add_f16_e32 v57, v58, v57
	v_fma_f16 v58, v109, s9, v56
	v_fma_f16 v56, v109, s9, -v56
	v_add_f16_e32 v56, v56, v59
	v_mul_f16_e32 v59, 0xb836, v52
	v_add_f16_e32 v58, v58, v60
	;; [unrolled: 5-line block ×4, first 2 shown]
	v_fma_f16 v93, v109, s8, v62
	v_add_f16_e32 v94, v93, v94
	v_fma_f16 v62, v109, s8, -v62
	v_mul_f16_e32 v93, 0xbbdd, v64
	v_add_f16_e32 v62, v62, v95
	v_fma_f16 v95, v79, s27, v93
	v_add_f16_e32 v95, v95, v96
	v_mul_f16_e32 v96, 0xb1e1, v52
	v_fma_f16 v110, v109, s25, v96
	v_fma_f16 v93, v79, s15, v93
	v_add_f16_e32 v105, v110, v105
	v_add_f16_e32 v26, v93, v26
	v_fma_f16 v93, v109, s25, -v96
	s_mov_b32 s18, 0x3b29ba62
	v_mul_f16_e32 v110, 0x3b29, v52
	v_add_f16_e32 v96, v93, v97
	v_pk_mul_f16 v93, v52, s18
	v_fma_f16 v52, v109, s23, -v110
	v_add_f16_e32 v52, v52, v54
	v_fma_f16 v54, v81, s14, v87
	v_add_f16_e32 v111, v54, v53
	v_lshrrev_b32_e32 v112, 16, v65
	v_mul_f16_e32 v53, 0x3b29, v63
	v_fma_f16 v54, v112, s23, v53
	v_fma_f16 v53, v112, s23, -v53
	v_add_f16_e32 v53, v53, v55
	v_mul_f16_e32 v55, 0xbbf7, v63
	v_add_f16_e32 v54, v54, v57
	v_fma_f16 v57, v112, s4, v55
	v_fma_f16 v55, v112, s4, -v55
	v_add_f16_e32 v55, v55, v56
	v_mul_f16_e32 v56, 0x3a62, v63
	v_add_f16_e32 v58, v57, v58
	v_fma_f16 v57, v112, s24, v56
	v_add_f16_e32 v60, v57, v60
	v_fma_f16 v56, v112, s24, -v56
	v_mul_f16_e32 v57, 0xb5c8, v63
	s_mov_b32 s15, 0xb8d23722
	v_add_f16_e32 v56, v56, v59
	v_fma_f16 v59, v112, s9, v57
	v_fma_f16 v57, v112, s9, -v57
	v_pk_fma_f16 v97, v64, s15, v93 op_sel:[0,0,1] op_sel_hi:[1,1,0] neg_lo:[0,0,1] neg_hi:[0,0,1]
	v_add_f16_e32 v61, v57, v61
	v_mul_f16_e32 v57, 0xb1e1, v63
	v_pk_add_f16 v97, v97, v98 op_sel:[1,0] op_sel_hi:[0,1]
	v_add_f16_e32 v98, v59, v107
	v_fma_f16 v59, v112, s25, v57
	v_fma_f16 v57, v112, s25, -v57
	v_add_f16_e32 v62, v57, v62
	v_mul_f16_e32 v57, 0x39e9, v65
	v_add_f16_e32 v94, v59, v94
	v_fma_f16 v59, v81, s11, v57
	v_add_f16_e32 v107, v59, v95
	v_mul_f16_e32 v59, 0x3964, v63
	v_fma_f16 v87, v112, s8, v59
	s_mov_b32 s14, 0xbbb2b836
	v_add_f16_e32 v95, v87, v105
	v_fma_f16 v57, v81, s29, v57
	s_mov_b32 s11, 0xbacdb461
	v_pk_mul_f16 v87, v63, s14
	v_add_f16_e32 v105, v57, v26
	v_fma_f16 v26, v112, s8, -v59
	v_pk_fma_f16 v57, v65, s11, v87 op_sel:[0,0,1] op_sel_hi:[1,1,0] neg_lo:[0,0,1] neg_hi:[0,0,1]
	v_mul_f16_e32 v113, 0xbbb2, v63
	v_add_f16_e32 v26, v26, v96
	v_pk_add_f16 v96, v57, v97 op_sel:[1,0] op_sel_hi:[0,1]
	v_fma_f16 v57, v112, s26, -v113
	v_add_f16_e32 v114, v57, v52
	v_lshrrev_b32_e32 v115, 16, v83
	v_mul_f16_e32 v57, 0x35c8, v84
	v_fma_f16 v52, v115, s9, v57
	v_add_f16_e32 v52, v52, v54
	v_fma_f16 v54, v115, s9, -v57
	v_add_f16_e32 v57, v54, v53
	v_mul_f16_e32 v54, 0xb836, v84
	v_fma_f16 v53, v115, s28, v54
	v_fma_f16 v54, v115, s28, -v54
	v_add_f16_e32 v59, v54, v55
	v_mul_f16_e32 v55, 0x3964, v84
	v_fma_f16 v54, v115, s8, v55
	v_fma_f16 v55, v115, s8, -v55
	v_add_f16_e32 v54, v54, v60
	v_add_f16_e32 v60, v55, v56
	v_mul_f16_e32 v56, 0xba62, v84
	v_add_f16_e32 v53, v53, v58
	v_fma_f16 v55, v115, s24, v56
	v_fma_f16 v56, v115, s24, -v56
	v_mul_f16_e32 v58, 0x3b29, v84
	v_add_f16_e32 v61, v56, v61
	v_fma_f16 v56, v115, s23, v58
	v_fma_f16 v58, v115, s23, -v58
	v_mul_f16_e32 v63, 0xbbb2, v84
	s_mov_b32 s8, 0x3bf7b1e1
	v_add_f16_e32 v56, v56, v94
	v_add_f16_e32 v62, v58, v62
	v_fma_f16 v58, v115, s26, v63
	v_fma_f16 v63, v115, s26, -v63
	s_mov_b32 s14, 0xbbdd2de8
	v_pk_mul_f16 v94, v84, s8
	v_add_f16_e32 v58, v58, v95
	v_add_f16_e32 v63, v63, v26
	v_pk_fma_f16 v26, v83, s14, v94 op_sel:[0,0,1] op_sel_hi:[1,1,0] neg_lo:[0,0,1] neg_hi:[0,0,1]
	s_mov_b32 s9, 0xffff
	v_mul_f16_e32 v95, 0x3b76, v25
	s_mov_b32 s8, 0x5040100
	v_pk_add_f16 v26, v26, v96 op_sel:[1,0] op_sel_hi:[0,1]
	v_bfi_b32 v95, s9, v95, v88
	v_perm_b32 v96, v67, v102, s8
	v_pk_add_f16 v96, v95, v96
	v_pk_mul_f16 v95, v25, s20
	s_mov_b32 s18, 0x7060302
	v_pack_b32_f16 v25, v101, v89
	v_perm_b32 v97, v95, v67, s18
	v_pk_add_f16 v25, v25, v97
	v_pk_add_f16 v25, v25, v96
	v_mul_f16_e32 v97, 0xbacd, v103
	v_pk_mul_f16 v96, v28, s19
	v_bfi_b32 v28, s9, v97, v90
	v_pack_b32_f16 v97, v106, v96
	v_pk_add_f16 v28, v28, v97
	v_pk_add_f16 v25, v28, v25
	v_mul_f16_e32 v28, 0x39e9, v100
	v_pk_mul_f16 v97, v30, s17
	v_bfi_b32 v28, s9, v28, v91
	v_pack_b32_f16 v30, v104, v97
	v_pk_add_f16 v28, v28, v30
	v_add_f16_e32 v55, v55, v98
	v_pk_add_f16 v25, v28, v25
	v_mul_f16_e32 v28, 0xb8d2, v108
	v_pk_mul_f16 v98, v51, s16
	v_bfi_b32 v28, s9, v28, v92
	v_pack_b32_f16 v30, v99, v98
	v_pk_add_f16 v28, v28, v30
	v_pk_add_f16 v25, v28, v25
	v_mul_f16_e32 v28, 0x3722, v109
	v_pk_mul_f16 v99, v64, s15
	v_bfi_b32 v28, s9, v28, v93
	v_pack_b32_f16 v30, v110, v99
	v_pk_add_f16 v28, v28, v30
	;; [unrolled: 6-line block ×3, first 2 shown]
	v_pk_add_f16 v25, v28, v25
	v_mul_f16_e32 v28, 0x3bf7, v84
	v_mul_f16_e32 v30, 0x2de8, v115
	v_pk_mul_f16 v84, v83, s14
	v_bfi_b32 v30, s9, v30, v94
	v_pack_b32_f16 v51, v28, v84
	v_pk_add_f16 v30, v30, v51
	v_pk_add_f16 v64, v30, v25
	v_fma_f16 v25, v115, s4, -v28
	v_mul_f16_e32 v28, 0xb461, v83
	v_add_f16_e32 v65, v25, v114
	v_fma_f16 v25, v85, s22, v86
	v_fma_f16 v51, v85, s10, v28
	;; [unrolled: 1-line block ×3, first 2 shown]
	v_add_f16_e32 v30, v25, v111
	v_add_f16_e32 v25, v51, v107
	;; [unrolled: 1-line block ×3, first 2 shown]
	v_mul_lo_u16_e32 v51, 17, v48
	s_barrier
	s_and_saveexec_b64 s[4:5], vcc
	s_cbranch_execz .LBB0_7
; %bb.6:
	v_alignbit_b32 v67, v67, v67, 16
	v_pk_add_f16 v24, v24, v67 op_sel:[0,1] op_sel_hi:[1,0]
	v_pk_add_f16 v24, v66, v24 op_sel:[1,0] op_sel_hi:[0,1]
	v_pk_add_f16 v18, v18, v24
	v_pk_add_f16 v18, v19, v18
	;; [unrolled: 1-line block ×3, first 2 shown]
	v_mul_f16_e32 v69, 0x3b76, v69
	v_pk_add_f16 v16, v17, v16
	v_mul_f16_e32 v71, 0xb964, v71
	v_mul_f16_e32 v83, 0xb1e1, v85
	v_alignbit_b32 v85, v89, v89, 16
	v_sub_f16_e32 v68, v69, v68
	v_pk_add_f16 v12, v12, v16
	v_mul_f16_e32 v73, 0xbb29, v73
	v_alignbit_b32 v86, v90, v90, 16
	v_pk_add_f16 v85, v95, v85
	v_sub_f16_e32 v69, v70, v71
	v_pk_add_f16 v12, v13, v12
	v_perm_b32 v13, v68, v88, s8
	v_mul_f16_e32 v75, 0xbbf7, v75
	v_alignbit_b32 v89, v91, v91, 16
	v_add_f16_sdwa v86, v96, v86 dst_sel:DWORD dst_unused:UNUSED_PAD src0_sel:WORD_1 src1_sel:WORD_1
	v_sub_f16_e32 v70, v72, v73
	v_pk_add_f16 v12, v14, v12
	v_pk_add_f16 v13, v13, v67
	v_pack_b32_f16 v14, v85, v69
	v_mul_f16_e32 v77, 0xbbb2, v77
	v_alignbit_b32 v90, v92, v92, 16
	v_add_f16_sdwa v89, v97, v89 dst_sel:DWORD dst_unused:UNUSED_PAD src0_sel:WORD_1 src1_sel:WORD_1
	v_sub_f16_e32 v71, v74, v75
	v_pk_add_f16 v13, v14, v13
	v_pack_b32_f16 v14, v86, v70
	v_mul_f16_e32 v79, 0xba62, v79
	v_alignbit_b32 v91, v93, v93, 16
	v_add_f16_sdwa v90, v98, v90 dst_sel:DWORD dst_unused:UNUSED_PAD src0_sel:WORD_1 src1_sel:WORD_1
	v_sub_f16_e32 v72, v76, v77
	;; [unrolled: 6-line block ×3, first 2 shown]
	v_pk_add_f16 v12, v15, v12
	v_pk_add_f16 v13, v14, v13
	v_pack_b32_f16 v14, v90, v72
	v_add_f16_sdwa v87, v100, v87 dst_sel:DWORD dst_unused:UNUSED_PAD src0_sel:WORD_1 src1_sel:WORD_1
	v_sub_f16_e32 v74, v80, v81
	v_pk_add_f16 v12, v20, v12
	v_pk_add_f16 v13, v14, v13
	v_pack_b32_f16 v14, v91, v73
	v_alignbit_b32 v92, v94, v94, 16
	v_pk_add_f16 v12, v21, v12
	v_pk_add_f16 v13, v14, v13
	v_pack_b32_f16 v14, v87, v74
	v_pk_add_f16 v12, v22, v12
	v_pk_add_f16 v13, v14, v13
	v_bfi_b32 v14, s9, v83, v92
	v_pk_add_f16 v12, v23, v12
	v_pk_add_f16 v14, v82, v14 neg_lo:[0,1] neg_hi:[0,1]
	v_pk_add_f16 v15, v84, v92
	v_pk_add_f16 v12, v29, v12 op_sel:[1,0] op_sel_hi:[0,1]
	v_bfi_b32 v14, s9, v14, v15
	v_add_lshl_u32 v18, v47, v51, 2
	v_pk_add_f16 v12, v27, v12
	v_pk_add_f16 v13, v14, v13 op_sel:[0,1] op_sel_hi:[1,0]
	ds_write2_b32 v18, v12, v13 offset1:1
	v_perm_b32 v12, v53, v4, s8
	v_perm_b32 v13, v52, v30, s8
	ds_write2_b32 v18, v13, v12 offset0:2 offset1:3
	v_perm_b32 v12, v55, v8, s8
	v_perm_b32 v13, v54, v5, s8
	ds_write2_b32 v18, v13, v12 offset0:4 offset1:5
	;; [unrolled: 3-line block ×3, first 2 shown]
	v_alignbit_b32 v12, v65, v64, 16
	v_alignbit_b32 v13, v64, v26, 16
	ds_write2_b32 v18, v13, v12 offset0:8 offset1:9
	v_perm_b32 v12, v62, v10, s8
	v_perm_b32 v13, v63, v28, s8
	ds_write2_b32 v18, v13, v12 offset0:10 offset1:11
	v_perm_b32 v12, v60, v6, s8
	v_perm_b32 v13, v61, v11, s8
	;; [unrolled: 3-line block ×3, first 2 shown]
	ds_write2_b32 v18, v13, v12 offset0:14 offset1:15
	v_perm_b32 v12, v26, v3, s8
	ds_write_b32 v18, v12 offset:64
.LBB0_7:
	s_or_b64 exec, exec, s[4:5]
	s_load_dwordx4 s[8:11], s[2:3], 0x0
	s_waitcnt lgkmcnt(0)
	s_barrier
	global_load_dword v12, v31, s[0:1]
	v_add_lshl_u32 v14, v47, v48, 2
	ds_read2_b32 v[15:16], v14 offset1:17
	v_lshl_add_u32 v13, v48, 2, v50
	s_waitcnt lgkmcnt(0)
	v_lshrrev_b32_e32 v17, 16, v16
	v_lshrrev_b32_e32 v18, 16, v15
	s_waitcnt vmcnt(0)
	v_mul_f16_sdwa v19, v17, v12 dst_sel:DWORD dst_unused:UNUSED_PAD src0_sel:DWORD src1_sel:WORD_1
	v_mul_f16_sdwa v20, v16, v12 dst_sel:DWORD dst_unused:UNUSED_PAD src0_sel:DWORD src1_sel:WORD_1
	v_fma_f16 v16, v16, v12, -v19
	v_fma_f16 v17, v17, v12, v20
	v_sub_f16_e32 v29, v15, v16
	v_sub_f16_e32 v17, v18, v17
	v_fma_f16 v15, v15, 2.0, -v29
	v_fma_f16 v16, v18, 2.0, -v17
	v_pack_b32_f16 v18, v29, v17
	v_pack_b32_f16 v19, v15, v16
	ds_write2_b32 v13, v19, v18 offset1:17
	s_waitcnt lgkmcnt(0)
	s_barrier
	s_and_saveexec_b64 s[0:1], vcc
	s_cbranch_execz .LBB0_9
; %bb.8:
	global_load_dword v18, v31, s[6:7] offset:136
	s_add_u32 s2, s6, 0x88
	s_addc_u32 s3, s7, 0
	global_load_dword v24, v31, s[2:3] offset:8
	global_load_dword v27, v31, s[2:3] offset:16
	;; [unrolled: 1-line block ×10, first 2 shown]
	ds_read_b32 v19, v49
	global_load_dword v80, v31, s[2:3] offset:88
	global_load_dword v81, v31, s[2:3] offset:96
	;; [unrolled: 1-line block ×6, first 2 shown]
	s_waitcnt lgkmcnt(0)
	v_lshrrev_b32_e32 v20, 16, v19
	s_waitcnt vmcnt(16)
	v_mul_f16_sdwa v21, v20, v18 dst_sel:DWORD dst_unused:UNUSED_PAD src0_sel:DWORD src1_sel:WORD_1
	v_mul_f16_sdwa v22, v19, v18 dst_sel:DWORD dst_unused:UNUSED_PAD src0_sel:DWORD src1_sel:WORD_1
	v_fma_f16 v19, v19, v18, -v21
	v_fma_f16 v18, v20, v18, v22
	v_pack_b32_f16 v18, v19, v18
	ds_write_b32 v49, v18
	ds_read2_b32 v[18:19], v13 offset0:2 offset1:4
	ds_read2_b32 v[20:21], v13 offset0:6 offset1:8
	;; [unrolled: 1-line block ×6, first 2 shown]
	s_waitcnt lgkmcnt(5)
	v_lshrrev_b32_e32 v86, 16, v18
	s_waitcnt vmcnt(15)
	v_mul_f16_sdwa v87, v18, v24 dst_sel:DWORD dst_unused:UNUSED_PAD src0_sel:DWORD src1_sel:WORD_1
	v_lshrrev_b32_e32 v88, 16, v19
	s_waitcnt vmcnt(14)
	v_mul_f16_sdwa v89, v19, v27 dst_sel:DWORD dst_unused:UNUSED_PAD src0_sel:DWORD src1_sel:WORD_1
	s_waitcnt lgkmcnt(4)
	v_lshrrev_b32_e32 v90, 16, v20
	s_waitcnt vmcnt(13)
	v_mul_f16_sdwa v91, v20, v72 dst_sel:DWORD dst_unused:UNUSED_PAD src0_sel:DWORD src1_sel:WORD_1
	v_lshrrev_b32_e32 v92, 16, v21
	s_waitcnt vmcnt(12)
	v_mul_f16_sdwa v93, v21, v73 dst_sel:DWORD dst_unused:UNUSED_PAD src0_sel:DWORD src1_sel:WORD_1
	;; [unrolled: 7-line block ×3, first 2 shown]
	s_waitcnt lgkmcnt(2)
	v_lshrrev_b32_e32 v98, 16, v66
	s_waitcnt vmcnt(9)
	v_mul_f16_sdwa v99, v66, v76 dst_sel:DWORD dst_unused:UNUSED_PAD src0_sel:DWORD src1_sel:WORD_1
	v_lshrrev_b32_e32 v100, 16, v67
	v_mul_f16_sdwa v105, v86, v24 dst_sel:DWORD dst_unused:UNUSED_PAD src0_sel:DWORD src1_sel:WORD_1
	v_fma_f16 v86, v86, v24, v87
	v_mul_f16_sdwa v87, v88, v27 dst_sel:DWORD dst_unused:UNUSED_PAD src0_sel:DWORD src1_sel:WORD_1
	s_waitcnt vmcnt(8)
	v_mul_f16_sdwa v101, v67, v77 dst_sel:DWORD dst_unused:UNUSED_PAD src0_sel:DWORD src1_sel:WORD_1
	v_fma_f16 v88, v88, v27, v89
	v_mul_f16_sdwa v89, v90, v72 dst_sel:DWORD dst_unused:UNUSED_PAD src0_sel:DWORD src1_sel:WORD_1
	v_fma_f16 v90, v90, v72, v91
	;; [unrolled: 2-line block ×6, first 2 shown]
	v_mul_f16_sdwa v99, v100, v77 dst_sel:DWORD dst_unused:UNUSED_PAD src0_sel:DWORD src1_sel:WORD_1
	v_fma_f16 v18, v18, v24, -v105
	v_fma_f16 v19, v19, v27, -v87
	s_waitcnt lgkmcnt(1)
	v_lshrrev_b32_e32 v102, 16, v68
	s_waitcnt vmcnt(7)
	v_mul_f16_sdwa v103, v68, v78 dst_sel:DWORD dst_unused:UNUSED_PAD src0_sel:DWORD src1_sel:WORD_1
	v_lshrrev_b32_e32 v104, 16, v69
	v_fma_f16 v100, v100, v77, v101
	v_fma_f16 v20, v20, v72, -v89
	v_fma_f16 v21, v21, v73, -v91
	;; [unrolled: 1-line block ×6, first 2 shown]
	v_pack_b32_f16 v18, v18, v86
	v_pack_b32_f16 v19, v19, v88
	v_mul_f16_sdwa v101, v102, v78 dst_sel:DWORD dst_unused:UNUSED_PAD src0_sel:DWORD src1_sel:WORD_1
	v_fma_f16 v102, v102, v78, v103
	s_waitcnt vmcnt(6)
	v_mul_f16_sdwa v103, v104, v79 dst_sel:DWORD dst_unused:UNUSED_PAD src0_sel:DWORD src1_sel:WORD_1
	v_pack_b32_f16 v20, v20, v90
	v_pack_b32_f16 v21, v21, v92
	v_pack_b32_f16 v22, v22, v94
	v_pack_b32_f16 v23, v23, v96
	v_pack_b32_f16 v24, v24, v98
	v_pack_b32_f16 v27, v27, v100
	ds_write2_b32 v13, v18, v19 offset0:2 offset1:4
	ds_write2_b32 v13, v20, v21 offset0:6 offset1:8
	;; [unrolled: 1-line block ×4, first 2 shown]
	v_mul_f16_sdwa v18, v69, v79 dst_sel:DWORD dst_unused:UNUSED_PAD src0_sel:DWORD src1_sel:WORD_1
	v_fma_f16 v66, v68, v78, -v101
	v_fma_f16 v67, v69, v79, -v103
	v_fma_f16 v18, v104, v79, v18
	v_pack_b32_f16 v66, v66, v102
	v_pack_b32_f16 v18, v67, v18
	ds_write2_b32 v13, v66, v18 offset0:18 offset1:20
	s_waitcnt lgkmcnt(5)
	v_lshrrev_b32_e32 v18, 16, v70
	s_waitcnt vmcnt(5)
	v_mul_f16_sdwa v19, v18, v80 dst_sel:DWORD dst_unused:UNUSED_PAD src0_sel:DWORD src1_sel:WORD_1
	v_mul_f16_sdwa v20, v70, v80 dst_sel:DWORD dst_unused:UNUSED_PAD src0_sel:DWORD src1_sel:WORD_1
	v_fma_f16 v19, v70, v80, -v19
	v_fma_f16 v18, v18, v80, v20
	v_lshrrev_b32_e32 v21, 16, v71
	v_pack_b32_f16 v20, v19, v18
	s_waitcnt vmcnt(4)
	v_mul_f16_sdwa v18, v21, v81 dst_sel:DWORD dst_unused:UNUSED_PAD src0_sel:DWORD src1_sel:WORD_1
	v_fma_f16 v22, v71, v81, -v18
	ds_read2_b32 v[18:19], v13 offset0:26 offset1:28
	v_mul_f16_sdwa v23, v71, v81 dst_sel:DWORD dst_unused:UNUSED_PAD src0_sel:DWORD src1_sel:WORD_1
	v_fma_f16 v21, v21, v81, v23
	v_pack_b32_f16 v21, v22, v21
	ds_write2_b32 v13, v20, v21 offset0:22 offset1:24
	s_waitcnt lgkmcnt(1)
	v_lshrrev_b32_e32 v20, 16, v18
	s_waitcnt vmcnt(3)
	v_mul_f16_sdwa v21, v20, v82 dst_sel:DWORD dst_unused:UNUSED_PAD src0_sel:DWORD src1_sel:WORD_1
	v_fma_f16 v21, v18, v82, -v21
	v_mul_f16_sdwa v18, v18, v82 dst_sel:DWORD dst_unused:UNUSED_PAD src0_sel:DWORD src1_sel:WORD_1
	v_lshrrev_b32_e32 v22, 16, v19
	v_fma_f16 v18, v20, v82, v18
	s_waitcnt vmcnt(2)
	v_mul_f16_sdwa v20, v22, v83 dst_sel:DWORD dst_unused:UNUSED_PAD src0_sel:DWORD src1_sel:WORD_1
	v_pack_b32_f16 v18, v21, v18
	v_fma_f16 v23, v19, v83, -v20
	ds_read2_b32 v[20:21], v13 offset0:30 offset1:32
	v_mul_f16_sdwa v19, v19, v83 dst_sel:DWORD dst_unused:UNUSED_PAD src0_sel:DWORD src1_sel:WORD_1
	v_fma_f16 v19, v22, v83, v19
	v_pack_b32_f16 v19, v23, v19
	ds_write2_b32 v13, v18, v19 offset0:26 offset1:28
	s_waitcnt lgkmcnt(1)
	v_lshrrev_b32_e32 v18, 16, v20
	s_waitcnt vmcnt(1)
	v_mul_f16_sdwa v19, v18, v84 dst_sel:DWORD dst_unused:UNUSED_PAD src0_sel:DWORD src1_sel:WORD_1
	v_fma_f16 v19, v20, v84, -v19
	v_mul_f16_sdwa v20, v20, v84 dst_sel:DWORD dst_unused:UNUSED_PAD src0_sel:DWORD src1_sel:WORD_1
	v_fma_f16 v18, v18, v84, v20
	v_pack_b32_f16 v18, v19, v18
	v_lshrrev_b32_e32 v19, 16, v21
	s_waitcnt vmcnt(0)
	v_mul_f16_sdwa v20, v19, v85 dst_sel:DWORD dst_unused:UNUSED_PAD src0_sel:DWORD src1_sel:WORD_1
	v_fma_f16 v20, v21, v85, -v20
	v_mul_f16_sdwa v21, v21, v85 dst_sel:DWORD dst_unused:UNUSED_PAD src0_sel:DWORD src1_sel:WORD_1
	v_fma_f16 v19, v19, v85, v21
	v_pack_b32_f16 v19, v20, v19
	ds_write2_b32 v13, v18, v19 offset0:30 offset1:32
.LBB0_9:
	s_or_b64 exec, exec, s[0:1]
	v_lshrrev_b32_e32 v27, 16, v64
	s_waitcnt lgkmcnt(0)
	s_barrier
	s_and_saveexec_b64 s[0:1], vcc
	s_cbranch_execz .LBB0_11
; %bb.10:
	ds_read_b32 v15, v49
	ds_read2_b32 v[29:30], v13 offset0:2 offset1:4
	ds_read2_b32 v[4:5], v13 offset0:6 offset1:8
	;; [unrolled: 1-line block ×8, first 2 shown]
	s_waitcnt lgkmcnt(8)
	v_lshrrev_b32_e32 v16, 16, v15
	s_waitcnt lgkmcnt(7)
	v_lshrrev_b32_e32 v17, 16, v29
	v_lshrrev_b32_e32 v52, 16, v30
	s_waitcnt lgkmcnt(6)
	v_lshrrev_b32_e32 v53, 16, v4
	;; [unrolled: 3-line block ×8, first 2 shown]
	v_alignbit_b32 v26, v26, v3, 16
.LBB0_11:
	s_or_b64 exec, exec, s[0:1]
	s_barrier
	s_and_saveexec_b64 s[0:1], vcc
	s_cbranch_execz .LBB0_13
; %bb.12:
	v_add_f16_e32 v97, v26, v17
	v_mul_f16_e32 v80, 0xbbdd, v97
	v_sub_f16_e32 v18, v29, v3
	s_movk_i32 s3, 0x31e1
	v_fma_f16 v19, v18, s3, v80
	v_sub_f16_e32 v100, v30, v2
	v_add_f16_e32 v20, v16, v19
	v_add_f16_e32 v19, v52, v57
	v_mul_f16_e32 v81, 0x35c8, v100
	s_movk_i32 s4, 0x3b76
	v_fma_f16 v21, v19, s4, -v81
	v_sub_f16_e32 v104, v4, v7
	v_add_f16_e32 v20, v21, v20
	v_add_f16_e32 v21, v53, v59
	v_mul_f16_e32 v82, 0xb836, v104
	s_mov_b32 s3, 0xbacd
	v_fma_f16 v22, v21, s3, -v82
	v_sub_f16_e32 v109, v5, v6
	v_add_f16_e32 v20, v22, v20
	v_add_f16_e32 v22, v54, v60
	v_mul_f16_e32 v83, 0x3964, v109
	s_movk_i32 s14, 0x39e9
	v_fma_f16 v23, v22, s14, -v83
	v_sub_f16_e32 v114, v8, v11
	v_add_f16_e32 v20, v23, v20
	v_add_f16_e32 v23, v55, v61
	v_mul_f16_e32 v84, 0xba62, v114
	s_mov_b32 s5, 0xb8d2
	v_fma_f16 v24, v23, s5, -v84
	;; [unrolled: 12-line block ×3, first 2 shown]
	v_sub_f16_sdwa v128, v26, v27 dst_sel:DWORD dst_unused:UNUSED_PAD src0_sel:WORD_1 src1_sel:DWORD
	v_add_f16_e32 v20, v67, v20
	v_add_f16_e32 v67, v64, v65
	v_mul_f16_e32 v87, 0x3bf7, v128
	s_movk_i32 s17, 0x2de8
	v_fma_f16 v68, v67, s17, -v87
	v_sub_f16_e32 v130, v17, v26
	s_mov_b32 s2, 0xbbdd
	v_add_f16_e32 v20, v68, v20
	v_add_f16_e32 v68, v3, v29
	v_mul_f16_e32 v88, 0xb1e1, v130
	v_fma_f16 v69, v68, s2, v88
	v_sub_f16_e32 v131, v52, v57
	v_add_f16_e32 v70, v15, v69
	v_add_f16_e32 v69, v30, v2
	v_mul_f16_e32 v89, 0x35c8, v131
	v_fma_f16 v71, v69, s4, v89
	v_sub_f16_e32 v132, v53, v59
	;; [unrolled: 5-line block ×7, first 2 shown]
	v_add_f16_e32 v72, v76, v72
	v_add_f16_sdwa v76, v26, v27 dst_sel:DWORD dst_unused:UNUSED_PAD src0_sel:WORD_1 src1_sel:DWORD
	v_mul_f16_e32 v95, 0x3bf7, v137
	v_fma_f16 v77, v76, s17, v95
	v_mul_f16_e32 v96, 0xbacd, v97
	s_movk_i32 s18, 0x3836
	v_add_f16_e32 v72, v77, v72
	v_fma_f16 v77, v18, s18, v96
	v_mul_f16_e32 v98, 0x3b29, v100
	v_add_f16_e32 v77, v16, v77
	v_fma_f16 v78, v19, s15, -v98
	v_mul_f16_e32 v99, 0xbbf7, v104
	v_add_f16_e32 v77, v78, v77
	v_fma_f16 v78, v21, s17, -v99
	;; [unrolled: 3-line block ×7, first 2 shown]
	v_mul_f16_e32 v107, 0xb836, v130
	v_add_f16_e32 v77, v78, v77
	v_fma_f16 v78, v68, s3, v107
	v_mul_f16_e32 v108, 0x3b29, v131
	v_add_f16_e32 v78, v15, v78
	v_fma_f16 v79, v69, s15, v108
	;; [unrolled: 3-line block ×7, first 2 shown]
	v_mul_f16_e32 v116, 0xbbb2, v137
	s_movk_i32 s18, 0x3a62
	v_add_f16_e32 v78, v79, v78
	v_fma_f16 v79, v76, s16, v116
	v_mul_f16_e32 v117, 0xb8d2, v97
	v_add_f16_e32 v78, v79, v78
	v_fma_f16 v79, v18, s18, v117
	v_mul_f16_e32 v118, 0x3bb2, v100
	v_add_f16_e32 v79, v16, v79
	v_fma_f16 v120, v19, s16, -v118
	v_add_f16_e32 v79, v120, v79
	v_mul_f16_e32 v120, 0xb5c8, v104
	v_fma_f16 v121, v21, s4, -v120
	v_add_f16_e32 v79, v121, v79
	v_mul_f16_e32 v121, 0xb836, v109
	;; [unrolled: 3-line block ×7, first 2 shown]
	v_fma_f16 v129, v68, s5, v127
	v_add_f16_e32 v138, v15, v129
	v_mul_f16_e32 v129, 0x3bb2, v131
	v_add_f16_e32 v29, v29, v15
	v_fma_f16 v139, v69, s16, v129
	v_add_f16_e32 v29, v30, v29
	v_mul_f16_e32 v30, 0xb5c8, v132
	v_add_f16_e32 v138, v139, v138
	;; [unrolled: 4-line block ×7, first 2 shown]
	v_fma_f16 v140, v76, s15, v29
	s_movk_i32 s18, 0x3bb2
	v_mul_f16_e32 v25, 0xb461, v97
	v_add_f16_sdwa v8, v26, v8 dst_sel:DWORD dst_unused:UNUSED_PAD src0_sel:WORD_1 src1_sel:DWORD
	v_add_f16_e32 v4, v140, v4
	v_fma_f16 v140, v18, s18, v25
	v_add_f16_e32 v8, v27, v8
	v_mul_f16_e32 v27, 0x3836, v100
	v_add_f16_e32 v140, v16, v140
	v_add_f16_e32 v8, v28, v8
	v_fma_f16 v28, v19, s3, -v27
	v_add_f16_e32 v28, v28, v140
	v_mul_f16_e32 v140, 0x3964, v104
	v_fma_f16 v141, v21, s14, -v140
	v_add_f16_e32 v8, v10, v8
	v_mul_f16_e32 v10, 0xbb29, v109
	v_add_f16_e32 v28, v141, v28
	v_add_f16_e32 v8, v11, v8
	v_fma_f16 v11, v22, s15, -v10
	v_add_f16_e32 v11, v11, v28
	v_mul_f16_e32 v28, 0xb1e1, v114
	v_add_f16_e32 v6, v6, v8
	v_fma_f16 v141, v23, s2, -v28
	v_add_f16_e32 v6, v7, v6
	v_mul_f16_e32 v7, 0x3bf7, v119
	v_add_f16_e32 v11, v141, v11
	v_fma_f16 v8, v24, s17, -v7
	v_add_f16_e32 v8, v8, v11
	v_mul_f16_e32 v11, 0xb5c8, v123
	v_add_f16_e32 v2, v2, v6
	v_fma_f16 v141, v66, s4, -v11
	v_add_f16_e32 v2, v3, v2
	v_mul_f16_e32 v3, 0xba62, v128
	v_add_f16_e32 v8, v141, v8
	v_fma_f16 v6, v67, s5, -v3
	v_add_f16_e32 v6, v6, v8
	v_mul_f16_e32 v8, 0xbbb2, v130
	v_fma_f16 v141, v68, s16, v8
	v_mul_f16_e32 v142, 0x3836, v131
	v_add_f16_e32 v141, v15, v141
	v_fma_f16 v143, v69, s3, v142
	v_add_f16_e32 v141, v143, v141
	v_mul_f16_e32 v143, 0x3964, v132
	v_fma_f16 v144, v70, s14, v143
	v_add_f16_e32 v141, v144, v141
	v_mul_f16_e32 v144, 0xbb29, v133
	v_fma_f16 v145, v71, s15, v144
	v_add_f16_e32 v141, v145, v141
	v_mul_f16_e32 v145, 0xb1e1, v134
	v_fma_f16 v146, v73, s2, v145
	v_add_f16_e32 v141, v146, v141
	v_mul_f16_e32 v146, 0x3bf7, v135
	v_fma_f16 v147, v74, s17, v146
	v_add_f16_e32 v141, v147, v141
	v_mul_f16_e32 v147, 0xb5c8, v136
	v_fma_f16 v148, v75, s4, v147
	v_add_f16_e32 v141, v148, v141
	v_mul_f16_e32 v148, 0xba62, v137
	v_fma_f16 v149, v76, s5, v148
	v_add_f16_e32 v141, v149, v141
	s_movk_i32 s18, 0x3bf7
	v_mul_f16_e32 v149, 0x2de8, v97
	v_fma_f16 v150, v18, s18, v149
	v_mul_f16_e32 v151, 0xb1e1, v100
	v_add_f16_e32 v150, v16, v150
	v_fma_f16 v152, v19, s2, -v151
	v_add_f16_e32 v150, v152, v150
	v_mul_f16_e32 v152, 0x3bb2, v104
	v_fma_f16 v153, v21, s16, -v152
	v_add_f16_e32 v150, v153, v150
	v_mul_f16_e32 v153, 0x35c8, v109
	v_fma_f16 v154, v22, s4, -v153
	v_add_f16_e32 v150, v154, v150
	v_mul_f16_e32 v154, 0xbb29, v114
	v_fma_f16 v155, v23, s15, -v154
	v_add_f16_e32 v150, v155, v150
	v_mul_f16_e32 v155, 0xb836, v119
	v_fma_f16 v156, v24, s3, -v155
	v_add_f16_e32 v150, v156, v150
	v_mul_f16_e32 v156, 0x3a62, v123
	v_fma_f16 v157, v66, s5, -v156
	v_add_f16_e32 v150, v157, v150
	v_mul_f16_e32 v157, 0x3964, v128
	v_fma_f16 v158, v67, s14, -v157
	v_add_f16_e32 v150, v158, v150
	v_mul_f16_e32 v158, 0xbbf7, v130
	v_fma_f16 v159, v68, s17, v158
	v_mul_f16_e32 v160, 0xb1e1, v131
	v_add_f16_e32 v159, v15, v159
	v_fma_f16 v161, v69, s2, v160
	v_add_f16_e32 v159, v161, v159
	v_mul_f16_e32 v161, 0x3bb2, v132
	v_fma_f16 v162, v70, s16, v161
	v_add_f16_e32 v159, v162, v159
	v_mul_f16_e32 v162, 0x35c8, v133
	v_fma_f16 v163, v71, s4, v162
	v_add_f16_e32 v159, v163, v159
	v_mul_f16_e32 v163, 0xbb29, v134
	v_fma_f16 v164, v73, s15, v163
	v_add_f16_e32 v159, v164, v159
	v_mul_f16_e32 v164, 0xb836, v135
	v_fma_f16 v165, v74, s3, v164
	v_add_f16_e32 v159, v165, v159
	v_mul_f16_e32 v165, 0x3a62, v136
	v_fma_f16 v166, v75, s5, v165
	v_add_f16_e32 v159, v166, v159
	v_mul_f16_e32 v166, 0x3964, v137
	v_fma_f16 v167, v76, s14, v166
	v_add_f16_e32 v159, v167, v159
	s_movk_i32 s18, 0x3b29
	v_mul_f16_e32 v167, 0x3722, v97
	v_fma_f16 v168, v18, s18, v167
	v_mul_f16_e32 v169, 0xba62, v100
	v_add_f16_e32 v168, v16, v168
	v_fma_f16 v170, v19, s5, -v169
	v_add_f16_e32 v168, v170, v168
	v_mul_f16_e32 v170, 0x31e1, v104
	v_fma_f16 v171, v21, s2, -v170
	v_add_f16_e32 v168, v171, v168
	v_mul_f16_e32 v171, 0x3bb2, v109
	v_fma_f16 v172, v22, s16, -v171
	v_add_f16_e32 v168, v172, v168
	v_mul_f16_e32 v172, 0x3964, v114
	v_fma_f16 v173, v23, s14, -v172
	v_add_f16_e32 v168, v173, v168
	v_mul_f16_e32 v173, 0xb5c8, v119
	v_fma_f16 v174, v24, s4, -v173
	v_add_f16_e32 v168, v174, v168
	v_mul_f16_e32 v174, 0xbbf7, v123
	v_fma_f16 v175, v66, s17, -v174
	v_add_f16_e32 v168, v175, v168
	v_mul_f16_e32 v175, 0xb836, v128
	v_fma_f16 v176, v67, s3, -v175
	v_add_f16_e32 v168, v176, v168
	v_mul_f16_e32 v176, 0xbb29, v130
	;; [unrolled: 49-line block ×3, first 2 shown]
	v_fma_f16 v195, v68, s14, v194
	v_mul_f16_e32 v196, 0xbbf7, v131
	v_add_f16_e32 v17, v17, v16
	v_add_f16_e32 v195, v15, v195
	v_fma_f16 v197, v69, s17, v196
	v_add_f16_e32 v17, v52, v17
	v_add_f16_e32 v195, v197, v195
	v_mul_f16_e32 v197, 0xba62, v132
	v_add_f16_e32 v17, v53, v17
	v_fma_f16 v198, v70, s5, v197
	v_add_f16_e32 v17, v54, v17
	v_add_f16_e32 v195, v198, v195
	v_mul_f16_e32 v198, 0xb1e1, v133
	;; [unrolled: 5-line block ×6, first 2 shown]
	v_add_f16_e32 v17, v60, v17
	v_fma_f16 v203, v76, s4, v202
	s_movk_i32 s18, 0x35c8
	v_mul_f16_e32 v97, 0x3b76, v97
	v_add_f16_e32 v17, v59, v17
	v_add_f16_e32 v195, v203, v195
	v_fma_f16 v203, v18, s18, v97
	v_add_f16_e32 v17, v57, v17
	s_mov_b32 s18, 0xb1e1
	v_add_f16_e32 v17, v26, v17
	v_fma_f16 v26, v18, s18, v80
	v_add_f16_e32 v26, v16, v26
	v_fma_f16 v52, v19, s4, v81
	v_add_f16_e32 v26, v52, v26
	v_fma_f16 v52, v21, s3, v82
	v_add_f16_e32 v26, v52, v26
	v_fma_f16 v52, v22, s14, v83
	v_add_f16_e32 v26, v52, v26
	v_fma_f16 v52, v23, s5, v84
	v_add_f16_e32 v26, v52, v26
	v_fma_f16 v52, v24, s15, v85
	v_add_f16_e32 v26, v52, v26
	v_fma_f16 v52, v66, s16, v86
	v_add_f16_e32 v26, v52, v26
	v_fma_f16 v52, v67, s17, v87
	v_add_f16_e32 v26, v52, v26
	v_fma_f16 v52, v68, s2, -v88
	v_add_f16_e32 v52, v15, v52
	v_fma_f16 v53, v69, s4, -v89
	v_add_f16_e32 v52, v53, v52
	v_fma_f16 v53, v70, s3, -v90
	v_add_f16_e32 v52, v53, v52
	v_fma_f16 v53, v71, s14, -v91
	v_add_f16_e32 v52, v53, v52
	v_fma_f16 v53, v73, s5, -v92
	v_add_f16_e32 v52, v53, v52
	v_fma_f16 v53, v74, s15, -v93
	v_add_f16_e32 v52, v53, v52
	v_fma_f16 v53, v75, s16, -v94
	v_add_f16_e32 v52, v53, v52
	v_fma_f16 v53, v76, s17, -v95
	s_mov_b32 s18, 0xb836
	v_add_f16_e32 v52, v53, v52
	v_fma_f16 v53, v18, s18, v96
	v_add_f16_e32 v53, v16, v53
	v_fma_f16 v54, v19, s15, v98
	v_add_f16_e32 v53, v54, v53
	v_fma_f16 v54, v21, s17, v99
	v_add_f16_e32 v53, v54, v53
	v_fma_f16 v54, v22, s5, v101
	v_add_f16_e32 v53, v54, v53
	v_fma_f16 v54, v23, s4, v102
	v_add_f16_e32 v53, v54, v53
	v_fma_f16 v54, v24, s2, v103
	v_add_f16_e32 v53, v54, v53
	v_fma_f16 v54, v66, s14, v105
	v_add_f16_e32 v53, v54, v53
	v_fma_f16 v54, v67, s16, v106
	v_add_f16_e32 v53, v54, v53
	v_fma_f16 v54, v68, s3, -v107
	v_add_f16_e32 v54, v15, v54
	v_fma_f16 v55, v69, s15, -v108
	v_add_f16_e32 v54, v55, v54
	v_fma_f16 v55, v70, s17, -v110
	v_add_f16_e32 v54, v55, v54
	v_fma_f16 v55, v71, s5, -v111
	v_add_f16_e32 v54, v55, v54
	v_fma_f16 v55, v73, s4, -v112
	v_add_f16_e32 v54, v55, v54
	v_fma_f16 v55, v74, s2, -v113
	v_add_f16_e32 v54, v55, v54
	v_fma_f16 v55, v75, s14, -v115
	v_add_f16_e32 v54, v55, v54
	v_fma_f16 v55, v76, s16, -v116
	;; [unrolled: 33-line block ×3, first 2 shown]
	s_mov_b32 s18, 0xbbb2
	v_add_f16_e32 v5, v9, v5
	v_fma_f16 v9, v18, s18, v25
	v_add_f16_e32 v9, v16, v9
	v_fma_f16 v25, v19, s3, v27
	;; [unrolled: 2-line block ×8, first 2 shown]
	v_add_f16_e32 v3, v3, v7
	v_fma_f16 v7, v68, s16, -v8
	v_add_f16_e32 v7, v15, v7
	v_fma_f16 v8, v69, s3, -v142
	;; [unrolled: 2-line block ×7, first 2 shown]
	s_mov_b32 s18, 0xbbf7
	v_add_f16_e32 v7, v8, v7
	v_fma_f16 v8, v76, s5, -v148
	v_add_f16_e32 v7, v8, v7
	v_fma_f16 v8, v18, s18, v149
	v_add_f16_e32 v8, v16, v8
	v_fma_f16 v9, v19, s2, v151
	;; [unrolled: 2-line block ×8, first 2 shown]
	v_add_f16_e32 v8, v9, v8
	v_fma_f16 v9, v68, s17, -v158
	v_add_f16_e32 v9, v15, v9
	v_fma_f16 v10, v69, s2, -v160
	v_add_f16_e32 v9, v10, v9
	v_fma_f16 v10, v70, s16, -v161
	v_add_f16_e32 v9, v10, v9
	v_fma_f16 v10, v71, s4, -v162
	v_add_f16_e32 v9, v10, v9
	v_fma_f16 v10, v73, s15, -v163
	v_add_f16_e32 v9, v10, v9
	v_fma_f16 v10, v74, s3, -v164
	v_add_f16_e32 v9, v10, v9
	v_fma_f16 v10, v75, s5, -v165
	s_mov_b32 s21, 0xbb29
	v_add_f16_e32 v9, v10, v9
	v_fma_f16 v10, v76, s14, -v166
	v_add_f16_e32 v9, v10, v9
	v_fma_f16 v10, v18, s21, v167
	v_add_f16_e32 v10, v16, v10
	v_fma_f16 v11, v19, s5, v169
	;; [unrolled: 2-line block ×8, first 2 shown]
	v_add_f16_e32 v10, v11, v10
	v_fma_f16 v11, v68, s15, -v176
	v_add_f16_e32 v11, v15, v11
	v_fma_f16 v25, v69, s5, -v178
	v_add_f16_e32 v11, v25, v11
	v_fma_f16 v25, v70, s2, -v179
	v_add_f16_e32 v11, v25, v11
	v_fma_f16 v25, v71, s16, -v180
	v_add_f16_e32 v11, v25, v11
	v_fma_f16 v25, v73, s14, -v181
	v_add_f16_e32 v11, v25, v11
	v_fma_f16 v25, v74, s4, -v182
	v_add_f16_e32 v11, v25, v11
	v_fma_f16 v25, v75, s17, -v183
	v_mul_f16_e32 v100, 0xb964, v100
	s_mov_b32 s19, 0xb5c8
	s_mov_b32 s20, 0xb964
	v_add_f16_e32 v11, v25, v11
	v_fma_f16 v25, v76, s3, -v184
	v_add_f16_e32 v203, v16, v203
	v_fma_f16 v204, v19, s14, -v100
	v_mul_f16_e32 v104, 0xbb29, v104
	v_add_f16_e32 v11, v25, v11
	v_fma_f16 v25, v18, s20, v185
	v_fma_f16 v18, v18, s19, v97
	v_add_f16_e32 v203, v204, v203
	v_fma_f16 v204, v21, s15, -v104
	v_mul_f16_e32 v109, 0xbbf7, v109
	v_add_f16_e32 v25, v16, v25
	v_fma_f16 v27, v19, s17, v187
	v_add_f16_e32 v16, v16, v18
	v_fma_f16 v18, v19, s14, v100
	v_add_f16_e32 v203, v204, v203
	v_fma_f16 v204, v22, s17, -v109
	v_mul_f16_e32 v114, 0xbbb2, v114
	v_add_f16_e32 v25, v27, v25
	v_fma_f16 v27, v21, s5, v188
	v_add_f16_e32 v16, v18, v16
	;; [unrolled: 7-line block ×6, first 2 shown]
	v_fma_f16 v18, v66, s3, v123
	v_add_f16_e32 v203, v204, v203
	v_fma_f16 v204, v68, s4, v130
	v_mul_f16_e32 v131, 0xb964, v131
	v_add_f16_e32 v25, v27, v25
	v_fma_f16 v27, v67, s4, v193
	v_add_f16_e32 v16, v18, v16
	v_fma_f16 v18, v67, s2, v128
	;; [unrolled: 2-line block ×3, first 2 shown]
	v_mul_f16_e32 v132, 0xbb29, v132
	v_add_f16_e32 v25, v27, v25
	v_fma_f16 v27, v68, s14, -v194
	v_add_f16_e32 v16, v18, v16
	v_fma_f16 v18, v68, s4, -v130
	v_add_f16_e32 v204, v205, v204
	v_fma_f16 v205, v70, s15, v132
	v_mul_f16_e32 v133, 0xbbf7, v133
	v_add_f16_e32 v27, v15, v27
	v_add_f16_e32 v15, v15, v18
	v_fma_f16 v18, v69, s14, -v131
	v_add_f16_e32 v204, v205, v204
	v_fma_f16 v205, v71, s17, v133
	v_mul_f16_e32 v134, 0xbbb2, v134
	v_add_f16_e32 v15, v18, v15
	v_fma_f16 v18, v70, s15, -v132
	v_add_f16_e32 v204, v205, v204
	v_fma_f16 v205, v73, s16, v134
	v_mul_f16_e32 v135, 0xba62, v135
	;; [unrolled: 5-line block ×4, first 2 shown]
	v_add_f16_e32 v15, v18, v15
	v_fma_f16 v18, v74, s5, -v135
	v_add_f16_e32 v204, v205, v204
	v_fma_f16 v205, v76, s2, v137
	v_add_f16_e32 v15, v18, v15
	v_fma_f16 v18, v75, s3, -v136
	v_add_f16_e32 v204, v205, v204
	v_fma_f16 v28, v69, s17, -v196
	;; [unrolled: 2-line block ×4, first 2 shown]
	v_add_f16_e32 v15, v18, v15
	v_lshl_add_u32 v18, v51, 2, v50
	v_pack_b32_f16 v19, v204, v203
	v_pack_b32_f16 v2, v2, v17
	v_add_f16_e32 v27, v28, v27
	v_fma_f16 v28, v71, s2, -v198
	ds_write2_b32 v18, v2, v19 offset1:1
	v_pack_b32_f16 v2, v177, v168
	v_pack_b32_f16 v17, v195, v186
	v_add_f16_e32 v27, v28, v27
	v_fma_f16 v28, v73, s3, -v199
	ds_write2_b32 v18, v17, v2 offset0:2 offset1:3
	v_pack_b32_f16 v2, v141, v6
	v_pack_b32_f16 v6, v159, v150
	v_add_f16_e32 v27, v28, v27
	v_fma_f16 v28, v74, s16, -v200
	ds_write2_b32 v18, v6, v2 offset0:4 offset1:5
	;; [unrolled: 5-line block ×4, first 2 shown]
	v_pack_b32_f16 v2, v5, v55
	v_pack_b32_f16 v4, v54, v53
	v_add_f16_e32 v27, v28, v27
	ds_write2_b32 v18, v4, v2 offset0:10 offset1:11
	v_pack_b32_f16 v2, v9, v8
	v_pack_b32_f16 v3, v7, v3
	ds_write2_b32 v18, v3, v2 offset0:12 offset1:13
	v_pack_b32_f16 v2, v27, v25
	v_pack_b32_f16 v3, v11, v10
	ds_write2_b32 v18, v3, v2 offset0:14 offset1:15
	v_pack_b32_f16 v2, v15, v16
	ds_write_b32 v18, v2 offset:64
.LBB0_13:
	s_or_b64 exec, exec, s[0:1]
	s_waitcnt lgkmcnt(0)
	s_barrier
	ds_read2_b32 v[2:3], v14 offset1:17
	s_waitcnt lgkmcnt(0)
	v_lshrrev_b32_e32 v5, 16, v3
	v_mul_f16_sdwa v6, v12, v5 dst_sel:DWORD dst_unused:UNUSED_PAD src0_sel:WORD_1 src1_sel:DWORD
	v_fma_f16 v6, v12, v3, v6
	v_mul_f16_sdwa v3, v12, v3 dst_sel:DWORD dst_unused:UNUSED_PAD src0_sel:WORD_1 src1_sel:DWORD
	v_lshrrev_b32_e32 v4, 16, v2
	v_fma_f16 v3, v12, v5, -v3
	v_sub_f16_e32 v5, v2, v6
	v_sub_f16_e32 v3, v4, v3
	v_fma_f16 v2, v2, 2.0, -v5
	v_fma_f16 v4, v4, 2.0, -v3
	v_pack_b32_f16 v2, v2, v4
	v_pack_b32_f16 v3, v5, v3
	ds_write2_b32 v13, v2, v3 offset1:17
	s_waitcnt lgkmcnt(0)
	s_barrier
	s_and_b64 exec, exec, vcc
	s_cbranch_execz .LBB0_15
; %bb.14:
	global_load_dword v10, v31, s[6:7]
	v_mad_u64_u32 v[3:4], s[0:1], s10, v1, 0
	v_mad_u64_u32 v[5:6], s[0:1], s8, v48, 0
	ds_read_b32 v11, v49
	s_mov_b32 s14, 0x1e1e1e1e
	v_mad_u64_u32 v[7:8], s[0:1], s11, v1, v[4:5]
	s_mov_b32 s15, 0x3f9e1e1e
	s_waitcnt lgkmcnt(0)
	v_lshrrev_b32_e32 v1, 16, v11
	v_mad_u64_u32 v[8:9], s[0:1], s9, v48, v[6:7]
	v_mov_b32_e32 v4, v7
	v_lshlrev_b64 v[3:4], 2, v[3:4]
	v_mov_b32_e32 v6, v8
	v_mov_b32_e32 v12, s13
	v_lshlrev_b64 v[5:6], 2, v[5:6]
	s_movk_i32 s16, 0x1ff
	s_movk_i32 s10, 0xffe
	v_mov_b32_e32 v2, 0x7c00
	s_movk_i32 s18, 0x40f
	s_mov_b32 s17, 0x8000
	s_waitcnt vmcnt(0)
	v_mul_f16_sdwa v7, v1, v10 dst_sel:DWORD dst_unused:UNUSED_PAD src0_sel:DWORD src1_sel:WORD_1
	v_fma_f16 v7, v11, v10, v7
	v_mul_f16_sdwa v8, v11, v10 dst_sel:DWORD dst_unused:UNUSED_PAD src0_sel:DWORD src1_sel:WORD_1
	v_cvt_f32_f16_e32 v7, v7
	v_fma_f16 v1, v10, v1, -v8
	v_cvt_f32_f16_e32 v1, v1
	v_cvt_f64_f32_e32 v[7:8], v7
	v_cvt_f64_f32_e32 v[9:10], v1
	v_add_co_u32_e32 v1, vcc, s12, v3
	v_mul_f64 v[7:8], v[7:8], s[14:15]
	v_mul_f64 v[9:10], v[9:10], s[14:15]
	v_addc_co_u32_e32 v3, vcc, v12, v4, vcc
	v_add_co_u32_e32 v4, vcc, v1, v5
	v_addc_co_u32_e32 v5, vcc, v3, v6, vcc
	v_and_or_b32 v6, v8, s16, v7
	v_and_or_b32 v9, v10, s16, v9
	v_cmp_ne_u32_e32 vcc, 0, v6
	v_lshrrev_b32_e32 v7, 8, v8
	v_bfe_u32 v11, v8, 20, 11
	v_cndmask_b32_e64 v6, 0, 1, vcc
	v_cmp_ne_u32_e32 vcc, 0, v9
	v_lshrrev_b32_e32 v12, 8, v10
	v_bfe_u32 v13, v10, 20, 11
	v_sub_u32_e32 v14, 0x3f1, v11
	v_cndmask_b32_e64 v9, 0, 1, vcc
	v_and_or_b32 v6, v7, s10, v6
	v_sub_u32_e32 v15, 0x3f1, v13
	v_med3_i32 v7, v14, 0, 13
	v_and_or_b32 v9, v12, s10, v9
	v_or_b32_e32 v14, 0x1000, v6
	v_add_u32_e32 v11, 0xfffffc10, v11
	v_med3_i32 v12, v15, 0, 13
	v_cmp_ne_u32_e32 vcc, 0, v6
	v_or_b32_e32 v16, 0x1000, v9
	v_lshrrev_b32_e32 v18, v7, v14
	v_add_u32_e32 v13, 0xfffffc10, v13
	v_lshl_or_b32 v15, v11, 12, v6
	v_cndmask_b32_e64 v6, 0, 1, vcc
	v_cmp_ne_u32_e32 vcc, 0, v9
	v_lshrrev_b32_e32 v19, v12, v16
	v_lshlrev_b32_e32 v7, v7, v18
	v_lshl_or_b32 v17, v13, 12, v9
	v_cndmask_b32_e64 v9, 0, 1, vcc
	v_lshlrev_b32_e32 v12, v12, v19
	v_cmp_ne_u32_e32 vcc, v7, v14
	v_cndmask_b32_e64 v7, 0, 1, vcc
	v_cmp_ne_u32_e32 vcc, v12, v16
	v_cndmask_b32_e64 v12, 0, 1, vcc
	v_or_b32_e32 v7, v18, v7
	v_cmp_gt_i32_e32 vcc, 1, v11
	v_cndmask_b32_e32 v7, v15, v7, vcc
	v_or_b32_e32 v12, v19, v12
	v_cmp_gt_i32_e32 vcc, 1, v13
	v_and_b32_e32 v14, 7, v7
	v_cndmask_b32_e32 v12, v17, v12, vcc
	v_cmp_lt_i32_e32 vcc, 5, v14
	v_cmp_eq_u32_e64 s[0:1], 3, v14
	v_lshrrev_b32_e32 v7, 2, v7
	v_and_b32_e32 v15, 7, v12
	s_or_b64 vcc, s[0:1], vcc
	v_cmp_lt_i32_e64 s[2:3], 5, v15
	v_cmp_eq_u32_e64 s[4:5], 3, v15
	v_addc_co_u32_e32 v7, vcc, 0, v7, vcc
	v_lshrrev_b32_e32 v12, 2, v12
	s_or_b64 vcc, s[4:5], s[2:3]
	v_addc_co_u32_e32 v12, vcc, 0, v12, vcc
	v_cmp_gt_i32_e32 vcc, 31, v11
	v_cndmask_b32_e32 v7, v2, v7, vcc
	v_cmp_gt_i32_e32 vcc, 31, v13
	v_lshl_or_b32 v6, v6, 9, v2
	v_cndmask_b32_e32 v12, v2, v12, vcc
	v_cmp_eq_u32_e32 vcc, s18, v11
	v_lshrrev_b32_e32 v8, 16, v8
	v_lshl_or_b32 v9, v9, 9, v2
	v_cndmask_b32_e32 v6, v7, v6, vcc
	v_cmp_eq_u32_e32 vcc, s18, v13
	v_lshrrev_b32_e32 v10, 16, v10
	v_cndmask_b32_e32 v7, v12, v9, vcc
	v_and_or_b32 v6, v8, s17, v6
	v_and_or_b32 v7, v10, s17, v7
	v_and_b32_e32 v6, 0xffff, v6
	v_lshl_or_b32 v6, v7, 16, v6
	global_store_dword v[4:5], v6, off
	global_load_dword v9, v31, s[6:7] offset:8
	v_lshl_add_u32 v4, v47, 2, v31
	ds_read2_b32 v[7:8], v4 offset0:2 offset1:4
	v_mad_u64_u32 v[5:6], s[0:1], s8, v46, 0
	s_waitcnt lgkmcnt(0)
	v_lshrrev_b32_e32 v10, 16, v7
	s_waitcnt vmcnt(0)
	v_mul_f16_sdwa v11, v10, v9 dst_sel:DWORD dst_unused:UNUSED_PAD src0_sel:DWORD src1_sel:WORD_1
	v_fma_f16 v11, v7, v9, v11
	v_mul_f16_sdwa v7, v7, v9 dst_sel:DWORD dst_unused:UNUSED_PAD src0_sel:DWORD src1_sel:WORD_1
	v_cvt_f32_f16_e32 v11, v11
	v_fma_f16 v7, v9, v10, -v7
	v_cvt_f32_f16_e32 v12, v7
	v_mad_u64_u32 v[6:7], s[0:1], s9, v46, v[6:7]
	v_cvt_f64_f32_e32 v[9:10], v11
	v_cvt_f64_f32_e32 v[11:12], v12
	v_lshlrev_b64 v[5:6], 2, v[5:6]
	v_mul_f64 v[9:10], v[9:10], s[14:15]
	v_mul_f64 v[11:12], v[11:12], s[14:15]
	v_add_co_u32_e32 v5, vcc, v1, v5
	v_addc_co_u32_e32 v6, vcc, v3, v6, vcc
	v_and_or_b32 v7, v10, s16, v9
	v_and_or_b32 v11, v12, s16, v11
	v_cmp_ne_u32_e32 vcc, 0, v7
	v_lshrrev_b32_e32 v9, 8, v10
	v_bfe_u32 v13, v10, 20, 11
	v_cndmask_b32_e64 v7, 0, 1, vcc
	v_cmp_ne_u32_e32 vcc, 0, v11
	v_lshrrev_b32_e32 v14, 8, v12
	v_bfe_u32 v15, v12, 20, 11
	v_sub_u32_e32 v16, 0x3f1, v13
	v_cndmask_b32_e64 v11, 0, 1, vcc
	v_and_or_b32 v7, v9, s10, v7
	v_sub_u32_e32 v17, 0x3f1, v15
	v_med3_i32 v9, v16, 0, 13
	v_and_or_b32 v11, v14, s10, v11
	v_or_b32_e32 v16, 0x1000, v7
	v_add_u32_e32 v13, 0xfffffc10, v13
	v_med3_i32 v14, v17, 0, 13
	v_cmp_ne_u32_e32 vcc, 0, v7
	v_or_b32_e32 v18, 0x1000, v11
	v_lshrrev_b32_e32 v20, v9, v16
	v_add_u32_e32 v15, 0xfffffc10, v15
	v_lshl_or_b32 v17, v13, 12, v7
	v_cndmask_b32_e64 v7, 0, 1, vcc
	v_cmp_ne_u32_e32 vcc, 0, v11
	v_lshrrev_b32_e32 v21, v14, v18
	v_lshlrev_b32_e32 v9, v9, v20
	v_lshl_or_b32 v19, v15, 12, v11
	v_cndmask_b32_e64 v11, 0, 1, vcc
	v_lshlrev_b32_e32 v14, v14, v21
	v_cmp_ne_u32_e32 vcc, v9, v16
	v_cndmask_b32_e64 v9, 0, 1, vcc
	v_cmp_ne_u32_e32 vcc, v14, v18
	v_cndmask_b32_e64 v14, 0, 1, vcc
	v_or_b32_e32 v9, v20, v9
	v_cmp_gt_i32_e32 vcc, 1, v13
	v_cndmask_b32_e32 v9, v17, v9, vcc
	v_or_b32_e32 v14, v21, v14
	v_cmp_gt_i32_e32 vcc, 1, v15
	v_and_b32_e32 v16, 7, v9
	v_cndmask_b32_e32 v14, v19, v14, vcc
	v_cmp_lt_i32_e32 vcc, 5, v16
	v_cmp_eq_u32_e64 s[0:1], 3, v16
	v_lshrrev_b32_e32 v9, 2, v9
	v_and_b32_e32 v17, 7, v14
	s_or_b64 vcc, s[0:1], vcc
	v_cmp_lt_i32_e64 s[2:3], 5, v17
	v_cmp_eq_u32_e64 s[4:5], 3, v17
	v_addc_co_u32_e32 v9, vcc, 0, v9, vcc
	v_lshrrev_b32_e32 v14, 2, v14
	s_or_b64 vcc, s[4:5], s[2:3]
	v_addc_co_u32_e32 v14, vcc, 0, v14, vcc
	v_cmp_gt_i32_e32 vcc, 31, v13
	v_cndmask_b32_e32 v9, v2, v9, vcc
	v_cmp_gt_i32_e32 vcc, 31, v15
	v_lshl_or_b32 v7, v7, 9, v2
	v_cndmask_b32_e32 v14, v2, v14, vcc
	v_cmp_eq_u32_e32 vcc, s18, v13
	v_lshrrev_b32_e32 v10, 16, v10
	v_lshl_or_b32 v11, v11, 9, v2
	v_cndmask_b32_e32 v7, v9, v7, vcc
	v_cmp_eq_u32_e32 vcc, s18, v15
	v_lshrrev_b32_e32 v12, 16, v12
	v_cndmask_b32_e32 v9, v14, v11, vcc
	v_and_or_b32 v7, v10, s17, v7
	v_and_or_b32 v9, v12, s17, v9
	v_and_b32_e32 v7, 0xffff, v7
	v_lshl_or_b32 v7, v9, 16, v7
	global_store_dword v[5:6], v7, off
	global_load_dword v7, v31, s[6:7] offset:16
	v_lshrrev_b32_e32 v9, 16, v8
	v_mad_u64_u32 v[5:6], s[0:1], s8, v45, 0
	s_waitcnt vmcnt(0)
	v_mul_f16_sdwa v10, v9, v7 dst_sel:DWORD dst_unused:UNUSED_PAD src0_sel:DWORD src1_sel:WORD_1
	v_fma_f16 v10, v8, v7, v10
	v_cvt_f32_f16_e32 v10, v10
	v_mul_f16_sdwa v8, v8, v7 dst_sel:DWORD dst_unused:UNUSED_PAD src0_sel:DWORD src1_sel:WORD_1
	v_fma_f16 v7, v7, v9, -v8
	v_cvt_f32_f16_e32 v11, v7
	v_cvt_f64_f32_e32 v[7:8], v10
	v_mad_u64_u32 v[9:10], s[0:1], s9, v45, v[6:7]
	v_cvt_f64_f32_e32 v[10:11], v11
	v_mul_f64 v[7:8], v[7:8], s[14:15]
	v_mov_b32_e32 v6, v9
	v_lshlrev_b64 v[5:6], 2, v[5:6]
	v_mul_f64 v[9:10], v[10:11], s[14:15]
	v_add_co_u32_e32 v5, vcc, v1, v5
	v_addc_co_u32_e32 v6, vcc, v3, v6, vcc
	v_and_or_b32 v7, v8, s16, v7
	v_cmp_ne_u32_e32 vcc, 0, v7
	v_lshrrev_b32_e32 v11, 8, v8
	v_and_or_b32 v9, v10, s16, v9
	v_bfe_u32 v12, v8, 20, 11
	v_cndmask_b32_e64 v7, 0, 1, vcc
	v_cmp_ne_u32_e32 vcc, 0, v9
	v_lshrrev_b32_e32 v13, 8, v10
	v_bfe_u32 v14, v10, 20, 11
	v_sub_u32_e32 v15, 0x3f1, v12
	v_cndmask_b32_e64 v9, 0, 1, vcc
	v_and_or_b32 v7, v11, s10, v7
	v_sub_u32_e32 v16, 0x3f1, v14
	v_med3_i32 v11, v15, 0, 13
	v_and_or_b32 v9, v13, s10, v9
	v_or_b32_e32 v15, 0x1000, v7
	v_add_u32_e32 v12, 0xfffffc10, v12
	v_med3_i32 v13, v16, 0, 13
	v_cmp_ne_u32_e32 vcc, 0, v7
	v_or_b32_e32 v17, 0x1000, v9
	v_lshrrev_b32_e32 v19, v11, v15
	v_add_u32_e32 v14, 0xfffffc10, v14
	v_lshl_or_b32 v16, v12, 12, v7
	v_cndmask_b32_e64 v7, 0, 1, vcc
	v_cmp_ne_u32_e32 vcc, 0, v9
	v_lshrrev_b32_e32 v20, v13, v17
	v_lshlrev_b32_e32 v11, v11, v19
	v_lshl_or_b32 v18, v14, 12, v9
	v_cndmask_b32_e64 v9, 0, 1, vcc
	v_lshlrev_b32_e32 v13, v13, v20
	v_cmp_ne_u32_e32 vcc, v11, v15
	v_cndmask_b32_e64 v11, 0, 1, vcc
	v_cmp_ne_u32_e32 vcc, v13, v17
	v_cndmask_b32_e64 v13, 0, 1, vcc
	v_or_b32_e32 v11, v19, v11
	v_cmp_gt_i32_e32 vcc, 1, v12
	v_cndmask_b32_e32 v11, v16, v11, vcc
	v_or_b32_e32 v13, v20, v13
	v_cmp_gt_i32_e32 vcc, 1, v14
	v_and_b32_e32 v15, 7, v11
	v_cndmask_b32_e32 v13, v18, v13, vcc
	v_cmp_lt_i32_e32 vcc, 5, v15
	v_cmp_eq_u32_e64 s[0:1], 3, v15
	v_lshrrev_b32_e32 v11, 2, v11
	v_and_b32_e32 v16, 7, v13
	s_or_b64 vcc, s[0:1], vcc
	v_cmp_lt_i32_e64 s[2:3], 5, v16
	v_cmp_eq_u32_e64 s[4:5], 3, v16
	v_addc_co_u32_e32 v11, vcc, 0, v11, vcc
	v_lshrrev_b32_e32 v13, 2, v13
	s_or_b64 vcc, s[4:5], s[2:3]
	v_addc_co_u32_e32 v13, vcc, 0, v13, vcc
	v_cmp_gt_i32_e32 vcc, 31, v12
	v_cndmask_b32_e32 v11, v2, v11, vcc
	v_cmp_gt_i32_e32 vcc, 31, v14
	v_lshl_or_b32 v7, v7, 9, v2
	v_cndmask_b32_e32 v13, v2, v13, vcc
	v_cmp_eq_u32_e32 vcc, s18, v12
	v_lshrrev_b32_e32 v8, 16, v8
	v_lshl_or_b32 v9, v9, 9, v2
	v_cndmask_b32_e32 v7, v11, v7, vcc
	v_cmp_eq_u32_e32 vcc, s18, v14
	v_lshrrev_b32_e32 v10, 16, v10
	v_cndmask_b32_e32 v9, v13, v9, vcc
	v_and_or_b32 v7, v8, s17, v7
	v_and_or_b32 v8, v10, s17, v9
	v_and_b32_e32 v7, 0xffff, v7
	v_lshl_or_b32 v7, v8, 16, v7
	global_store_dword v[5:6], v7, off
	global_load_dword v9, v31, s[6:7] offset:24
	ds_read2_b32 v[7:8], v4 offset0:6 offset1:8
	v_mad_u64_u32 v[5:6], s[0:1], s8, v44, 0
	s_waitcnt lgkmcnt(0)
	v_lshrrev_b32_e32 v10, 16, v7
	s_waitcnt vmcnt(0)
	v_mul_f16_sdwa v11, v10, v9 dst_sel:DWORD dst_unused:UNUSED_PAD src0_sel:DWORD src1_sel:WORD_1
	v_fma_f16 v11, v7, v9, v11
	v_mul_f16_sdwa v7, v7, v9 dst_sel:DWORD dst_unused:UNUSED_PAD src0_sel:DWORD src1_sel:WORD_1
	v_cvt_f32_f16_e32 v11, v11
	v_fma_f16 v7, v9, v10, -v7
	v_cvt_f32_f16_e32 v12, v7
	v_mad_u64_u32 v[6:7], s[0:1], s9, v44, v[6:7]
	v_cvt_f64_f32_e32 v[9:10], v11
	v_cvt_f64_f32_e32 v[11:12], v12
	v_lshlrev_b64 v[5:6], 2, v[5:6]
	v_mul_f64 v[9:10], v[9:10], s[14:15]
	v_mul_f64 v[11:12], v[11:12], s[14:15]
	v_add_co_u32_e32 v5, vcc, v1, v5
	v_addc_co_u32_e32 v6, vcc, v3, v6, vcc
	v_and_or_b32 v7, v10, s16, v9
	v_and_or_b32 v11, v12, s16, v11
	v_cmp_ne_u32_e32 vcc, 0, v7
	v_lshrrev_b32_e32 v9, 8, v10
	v_bfe_u32 v13, v10, 20, 11
	v_cndmask_b32_e64 v7, 0, 1, vcc
	v_cmp_ne_u32_e32 vcc, 0, v11
	v_lshrrev_b32_e32 v14, 8, v12
	v_bfe_u32 v15, v12, 20, 11
	v_sub_u32_e32 v16, 0x3f1, v13
	v_cndmask_b32_e64 v11, 0, 1, vcc
	v_and_or_b32 v7, v9, s10, v7
	v_sub_u32_e32 v17, 0x3f1, v15
	v_med3_i32 v9, v16, 0, 13
	v_and_or_b32 v11, v14, s10, v11
	v_or_b32_e32 v16, 0x1000, v7
	v_add_u32_e32 v13, 0xfffffc10, v13
	v_med3_i32 v14, v17, 0, 13
	v_cmp_ne_u32_e32 vcc, 0, v7
	v_or_b32_e32 v18, 0x1000, v11
	v_lshrrev_b32_e32 v20, v9, v16
	v_add_u32_e32 v15, 0xfffffc10, v15
	v_lshl_or_b32 v17, v13, 12, v7
	v_cndmask_b32_e64 v7, 0, 1, vcc
	v_cmp_ne_u32_e32 vcc, 0, v11
	v_lshrrev_b32_e32 v21, v14, v18
	v_lshlrev_b32_e32 v9, v9, v20
	v_lshl_or_b32 v19, v15, 12, v11
	v_cndmask_b32_e64 v11, 0, 1, vcc
	v_lshlrev_b32_e32 v14, v14, v21
	v_cmp_ne_u32_e32 vcc, v9, v16
	v_cndmask_b32_e64 v9, 0, 1, vcc
	v_cmp_ne_u32_e32 vcc, v14, v18
	v_cndmask_b32_e64 v14, 0, 1, vcc
	v_or_b32_e32 v9, v20, v9
	v_cmp_gt_i32_e32 vcc, 1, v13
	v_cndmask_b32_e32 v9, v17, v9, vcc
	v_or_b32_e32 v14, v21, v14
	v_cmp_gt_i32_e32 vcc, 1, v15
	v_and_b32_e32 v16, 7, v9
	v_cndmask_b32_e32 v14, v19, v14, vcc
	v_cmp_lt_i32_e32 vcc, 5, v16
	v_cmp_eq_u32_e64 s[0:1], 3, v16
	v_lshrrev_b32_e32 v9, 2, v9
	v_and_b32_e32 v17, 7, v14
	s_or_b64 vcc, s[0:1], vcc
	v_cmp_lt_i32_e64 s[2:3], 5, v17
	v_cmp_eq_u32_e64 s[4:5], 3, v17
	v_addc_co_u32_e32 v9, vcc, 0, v9, vcc
	v_lshrrev_b32_e32 v14, 2, v14
	s_or_b64 vcc, s[4:5], s[2:3]
	v_addc_co_u32_e32 v14, vcc, 0, v14, vcc
	v_cmp_gt_i32_e32 vcc, 31, v13
	v_cndmask_b32_e32 v9, v2, v9, vcc
	v_cmp_gt_i32_e32 vcc, 31, v15
	v_lshl_or_b32 v7, v7, 9, v2
	v_cndmask_b32_e32 v14, v2, v14, vcc
	v_cmp_eq_u32_e32 vcc, s18, v13
	v_lshrrev_b32_e32 v10, 16, v10
	v_lshl_or_b32 v11, v11, 9, v2
	v_cndmask_b32_e32 v7, v9, v7, vcc
	v_cmp_eq_u32_e32 vcc, s18, v15
	v_lshrrev_b32_e32 v12, 16, v12
	v_cndmask_b32_e32 v9, v14, v11, vcc
	v_and_or_b32 v7, v10, s17, v7
	v_and_or_b32 v9, v12, s17, v9
	v_and_b32_e32 v7, 0xffff, v7
	v_lshl_or_b32 v7, v9, 16, v7
	global_store_dword v[5:6], v7, off
	global_load_dword v7, v31, s[6:7] offset:32
	v_lshrrev_b32_e32 v9, 16, v8
	v_mad_u64_u32 v[5:6], s[0:1], s8, v43, 0
	s_waitcnt vmcnt(0)
	v_mul_f16_sdwa v10, v9, v7 dst_sel:DWORD dst_unused:UNUSED_PAD src0_sel:DWORD src1_sel:WORD_1
	v_fma_f16 v10, v8, v7, v10
	v_cvt_f32_f16_e32 v10, v10
	v_mul_f16_sdwa v8, v8, v7 dst_sel:DWORD dst_unused:UNUSED_PAD src0_sel:DWORD src1_sel:WORD_1
	v_fma_f16 v7, v7, v9, -v8
	v_cvt_f32_f16_e32 v11, v7
	v_cvt_f64_f32_e32 v[7:8], v10
	v_mad_u64_u32 v[9:10], s[0:1], s9, v43, v[6:7]
	v_cvt_f64_f32_e32 v[10:11], v11
	v_mul_f64 v[7:8], v[7:8], s[14:15]
	v_mov_b32_e32 v6, v9
	v_lshlrev_b64 v[5:6], 2, v[5:6]
	v_mul_f64 v[9:10], v[10:11], s[14:15]
	v_add_co_u32_e32 v5, vcc, v1, v5
	v_addc_co_u32_e32 v6, vcc, v3, v6, vcc
	v_and_or_b32 v7, v8, s16, v7
	v_cmp_ne_u32_e32 vcc, 0, v7
	v_lshrrev_b32_e32 v11, 8, v8
	v_and_or_b32 v9, v10, s16, v9
	v_bfe_u32 v12, v8, 20, 11
	v_cndmask_b32_e64 v7, 0, 1, vcc
	v_cmp_ne_u32_e32 vcc, 0, v9
	v_lshrrev_b32_e32 v13, 8, v10
	v_bfe_u32 v14, v10, 20, 11
	v_sub_u32_e32 v15, 0x3f1, v12
	v_cndmask_b32_e64 v9, 0, 1, vcc
	v_and_or_b32 v7, v11, s10, v7
	v_sub_u32_e32 v16, 0x3f1, v14
	v_med3_i32 v11, v15, 0, 13
	v_and_or_b32 v9, v13, s10, v9
	v_or_b32_e32 v15, 0x1000, v7
	v_add_u32_e32 v12, 0xfffffc10, v12
	v_med3_i32 v13, v16, 0, 13
	v_cmp_ne_u32_e32 vcc, 0, v7
	v_or_b32_e32 v17, 0x1000, v9
	v_lshrrev_b32_e32 v19, v11, v15
	v_add_u32_e32 v14, 0xfffffc10, v14
	v_lshl_or_b32 v16, v12, 12, v7
	v_cndmask_b32_e64 v7, 0, 1, vcc
	v_cmp_ne_u32_e32 vcc, 0, v9
	v_lshrrev_b32_e32 v20, v13, v17
	v_lshlrev_b32_e32 v11, v11, v19
	v_lshl_or_b32 v18, v14, 12, v9
	v_cndmask_b32_e64 v9, 0, 1, vcc
	v_lshlrev_b32_e32 v13, v13, v20
	v_cmp_ne_u32_e32 vcc, v11, v15
	v_cndmask_b32_e64 v11, 0, 1, vcc
	v_cmp_ne_u32_e32 vcc, v13, v17
	v_cndmask_b32_e64 v13, 0, 1, vcc
	v_or_b32_e32 v11, v19, v11
	v_cmp_gt_i32_e32 vcc, 1, v12
	v_cndmask_b32_e32 v11, v16, v11, vcc
	v_or_b32_e32 v13, v20, v13
	v_cmp_gt_i32_e32 vcc, 1, v14
	v_and_b32_e32 v15, 7, v11
	v_cndmask_b32_e32 v13, v18, v13, vcc
	v_cmp_lt_i32_e32 vcc, 5, v15
	v_cmp_eq_u32_e64 s[0:1], 3, v15
	v_lshrrev_b32_e32 v11, 2, v11
	v_and_b32_e32 v16, 7, v13
	s_or_b64 vcc, s[0:1], vcc
	v_cmp_lt_i32_e64 s[2:3], 5, v16
	v_cmp_eq_u32_e64 s[4:5], 3, v16
	v_addc_co_u32_e32 v11, vcc, 0, v11, vcc
	v_lshrrev_b32_e32 v13, 2, v13
	s_or_b64 vcc, s[4:5], s[2:3]
	v_addc_co_u32_e32 v13, vcc, 0, v13, vcc
	v_cmp_gt_i32_e32 vcc, 31, v12
	v_cndmask_b32_e32 v11, v2, v11, vcc
	v_cmp_gt_i32_e32 vcc, 31, v14
	v_lshl_or_b32 v7, v7, 9, v2
	v_cndmask_b32_e32 v13, v2, v13, vcc
	v_cmp_eq_u32_e32 vcc, s18, v12
	v_lshrrev_b32_e32 v8, 16, v8
	v_lshl_or_b32 v9, v9, 9, v2
	v_cndmask_b32_e32 v7, v11, v7, vcc
	v_cmp_eq_u32_e32 vcc, s18, v14
	v_lshrrev_b32_e32 v10, 16, v10
	v_cndmask_b32_e32 v9, v13, v9, vcc
	v_and_or_b32 v7, v8, s17, v7
	v_and_or_b32 v8, v10, s17, v9
	v_and_b32_e32 v7, 0xffff, v7
	v_lshl_or_b32 v7, v8, 16, v7
	global_store_dword v[5:6], v7, off
	global_load_dword v9, v31, s[6:7] offset:40
	ds_read2_b32 v[7:8], v4 offset0:10 offset1:12
	v_mad_u64_u32 v[5:6], s[0:1], s8, v42, 0
	s_waitcnt lgkmcnt(0)
	v_lshrrev_b32_e32 v10, 16, v7
	s_waitcnt vmcnt(0)
	v_mul_f16_sdwa v11, v10, v9 dst_sel:DWORD dst_unused:UNUSED_PAD src0_sel:DWORD src1_sel:WORD_1
	v_fma_f16 v11, v7, v9, v11
	v_mul_f16_sdwa v7, v7, v9 dst_sel:DWORD dst_unused:UNUSED_PAD src0_sel:DWORD src1_sel:WORD_1
	v_cvt_f32_f16_e32 v11, v11
	v_fma_f16 v7, v9, v10, -v7
	v_cvt_f32_f16_e32 v12, v7
	v_mad_u64_u32 v[6:7], s[0:1], s9, v42, v[6:7]
	v_cvt_f64_f32_e32 v[9:10], v11
	v_cvt_f64_f32_e32 v[11:12], v12
	v_lshlrev_b64 v[5:6], 2, v[5:6]
	v_mul_f64 v[9:10], v[9:10], s[14:15]
	v_mul_f64 v[11:12], v[11:12], s[14:15]
	v_add_co_u32_e32 v5, vcc, v1, v5
	v_addc_co_u32_e32 v6, vcc, v3, v6, vcc
	v_and_or_b32 v7, v10, s16, v9
	v_and_or_b32 v11, v12, s16, v11
	v_cmp_ne_u32_e32 vcc, 0, v7
	v_lshrrev_b32_e32 v9, 8, v10
	v_bfe_u32 v13, v10, 20, 11
	v_cndmask_b32_e64 v7, 0, 1, vcc
	v_cmp_ne_u32_e32 vcc, 0, v11
	v_lshrrev_b32_e32 v14, 8, v12
	v_bfe_u32 v15, v12, 20, 11
	v_sub_u32_e32 v16, 0x3f1, v13
	v_cndmask_b32_e64 v11, 0, 1, vcc
	v_and_or_b32 v7, v9, s10, v7
	v_sub_u32_e32 v17, 0x3f1, v15
	v_med3_i32 v9, v16, 0, 13
	v_and_or_b32 v11, v14, s10, v11
	v_or_b32_e32 v16, 0x1000, v7
	v_add_u32_e32 v13, 0xfffffc10, v13
	v_med3_i32 v14, v17, 0, 13
	v_cmp_ne_u32_e32 vcc, 0, v7
	v_or_b32_e32 v18, 0x1000, v11
	v_lshrrev_b32_e32 v20, v9, v16
	v_add_u32_e32 v15, 0xfffffc10, v15
	v_lshl_or_b32 v17, v13, 12, v7
	v_cndmask_b32_e64 v7, 0, 1, vcc
	v_cmp_ne_u32_e32 vcc, 0, v11
	v_lshrrev_b32_e32 v21, v14, v18
	v_lshlrev_b32_e32 v9, v9, v20
	v_lshl_or_b32 v19, v15, 12, v11
	v_cndmask_b32_e64 v11, 0, 1, vcc
	v_lshlrev_b32_e32 v14, v14, v21
	v_cmp_ne_u32_e32 vcc, v9, v16
	v_cndmask_b32_e64 v9, 0, 1, vcc
	v_cmp_ne_u32_e32 vcc, v14, v18
	v_cndmask_b32_e64 v14, 0, 1, vcc
	v_or_b32_e32 v9, v20, v9
	v_cmp_gt_i32_e32 vcc, 1, v13
	v_cndmask_b32_e32 v9, v17, v9, vcc
	v_or_b32_e32 v14, v21, v14
	v_cmp_gt_i32_e32 vcc, 1, v15
	v_and_b32_e32 v16, 7, v9
	v_cndmask_b32_e32 v14, v19, v14, vcc
	v_cmp_lt_i32_e32 vcc, 5, v16
	v_cmp_eq_u32_e64 s[0:1], 3, v16
	v_lshrrev_b32_e32 v9, 2, v9
	v_and_b32_e32 v17, 7, v14
	s_or_b64 vcc, s[0:1], vcc
	v_cmp_lt_i32_e64 s[2:3], 5, v17
	v_cmp_eq_u32_e64 s[4:5], 3, v17
	v_addc_co_u32_e32 v9, vcc, 0, v9, vcc
	v_lshrrev_b32_e32 v14, 2, v14
	s_or_b64 vcc, s[4:5], s[2:3]
	v_addc_co_u32_e32 v14, vcc, 0, v14, vcc
	v_cmp_gt_i32_e32 vcc, 31, v13
	v_cndmask_b32_e32 v9, v2, v9, vcc
	v_cmp_gt_i32_e32 vcc, 31, v15
	v_lshl_or_b32 v7, v7, 9, v2
	v_cndmask_b32_e32 v14, v2, v14, vcc
	v_cmp_eq_u32_e32 vcc, s18, v13
	v_lshrrev_b32_e32 v10, 16, v10
	v_lshl_or_b32 v11, v11, 9, v2
	v_cndmask_b32_e32 v7, v9, v7, vcc
	v_cmp_eq_u32_e32 vcc, s18, v15
	v_lshrrev_b32_e32 v12, 16, v12
	v_cndmask_b32_e32 v9, v14, v11, vcc
	v_and_or_b32 v7, v10, s17, v7
	v_and_or_b32 v9, v12, s17, v9
	v_and_b32_e32 v7, 0xffff, v7
	v_lshl_or_b32 v7, v9, 16, v7
	global_store_dword v[5:6], v7, off
	global_load_dword v7, v31, s[6:7] offset:48
	v_lshrrev_b32_e32 v9, 16, v8
	v_mad_u64_u32 v[5:6], s[0:1], s8, v41, 0
	s_waitcnt vmcnt(0)
	v_mul_f16_sdwa v10, v9, v7 dst_sel:DWORD dst_unused:UNUSED_PAD src0_sel:DWORD src1_sel:WORD_1
	v_fma_f16 v10, v8, v7, v10
	v_cvt_f32_f16_e32 v10, v10
	v_mul_f16_sdwa v8, v8, v7 dst_sel:DWORD dst_unused:UNUSED_PAD src0_sel:DWORD src1_sel:WORD_1
	v_fma_f16 v7, v7, v9, -v8
	v_cvt_f32_f16_e32 v11, v7
	v_cvt_f64_f32_e32 v[7:8], v10
	v_mad_u64_u32 v[9:10], s[0:1], s9, v41, v[6:7]
	v_cvt_f64_f32_e32 v[10:11], v11
	v_mul_f64 v[7:8], v[7:8], s[14:15]
	v_mov_b32_e32 v6, v9
	v_lshlrev_b64 v[5:6], 2, v[5:6]
	v_mul_f64 v[9:10], v[10:11], s[14:15]
	v_add_co_u32_e32 v5, vcc, v1, v5
	v_addc_co_u32_e32 v6, vcc, v3, v6, vcc
	v_and_or_b32 v7, v8, s16, v7
	v_cmp_ne_u32_e32 vcc, 0, v7
	v_lshrrev_b32_e32 v11, 8, v8
	v_and_or_b32 v9, v10, s16, v9
	v_bfe_u32 v12, v8, 20, 11
	v_cndmask_b32_e64 v7, 0, 1, vcc
	v_cmp_ne_u32_e32 vcc, 0, v9
	v_lshrrev_b32_e32 v13, 8, v10
	v_bfe_u32 v14, v10, 20, 11
	v_sub_u32_e32 v15, 0x3f1, v12
	v_cndmask_b32_e64 v9, 0, 1, vcc
	v_and_or_b32 v7, v11, s10, v7
	v_sub_u32_e32 v16, 0x3f1, v14
	v_med3_i32 v11, v15, 0, 13
	v_and_or_b32 v9, v13, s10, v9
	v_or_b32_e32 v15, 0x1000, v7
	v_add_u32_e32 v12, 0xfffffc10, v12
	v_med3_i32 v13, v16, 0, 13
	v_cmp_ne_u32_e32 vcc, 0, v7
	v_or_b32_e32 v17, 0x1000, v9
	v_lshrrev_b32_e32 v19, v11, v15
	v_add_u32_e32 v14, 0xfffffc10, v14
	v_lshl_or_b32 v16, v12, 12, v7
	v_cndmask_b32_e64 v7, 0, 1, vcc
	v_cmp_ne_u32_e32 vcc, 0, v9
	v_lshrrev_b32_e32 v20, v13, v17
	v_lshlrev_b32_e32 v11, v11, v19
	v_lshl_or_b32 v18, v14, 12, v9
	v_cndmask_b32_e64 v9, 0, 1, vcc
	v_lshlrev_b32_e32 v13, v13, v20
	v_cmp_ne_u32_e32 vcc, v11, v15
	v_cndmask_b32_e64 v11, 0, 1, vcc
	v_cmp_ne_u32_e32 vcc, v13, v17
	v_cndmask_b32_e64 v13, 0, 1, vcc
	v_or_b32_e32 v11, v19, v11
	v_cmp_gt_i32_e32 vcc, 1, v12
	v_cndmask_b32_e32 v11, v16, v11, vcc
	v_or_b32_e32 v13, v20, v13
	v_cmp_gt_i32_e32 vcc, 1, v14
	v_and_b32_e32 v15, 7, v11
	v_cndmask_b32_e32 v13, v18, v13, vcc
	v_cmp_lt_i32_e32 vcc, 5, v15
	v_cmp_eq_u32_e64 s[0:1], 3, v15
	v_lshrrev_b32_e32 v11, 2, v11
	v_and_b32_e32 v16, 7, v13
	s_or_b64 vcc, s[0:1], vcc
	v_cmp_lt_i32_e64 s[2:3], 5, v16
	v_cmp_eq_u32_e64 s[4:5], 3, v16
	v_addc_co_u32_e32 v11, vcc, 0, v11, vcc
	v_lshrrev_b32_e32 v13, 2, v13
	s_or_b64 vcc, s[4:5], s[2:3]
	v_addc_co_u32_e32 v13, vcc, 0, v13, vcc
	v_cmp_gt_i32_e32 vcc, 31, v12
	v_cndmask_b32_e32 v11, v2, v11, vcc
	v_cmp_gt_i32_e32 vcc, 31, v14
	v_lshl_or_b32 v7, v7, 9, v2
	v_cndmask_b32_e32 v13, v2, v13, vcc
	v_cmp_eq_u32_e32 vcc, s18, v12
	v_lshrrev_b32_e32 v8, 16, v8
	v_lshl_or_b32 v9, v9, 9, v2
	v_cndmask_b32_e32 v7, v11, v7, vcc
	v_cmp_eq_u32_e32 vcc, s18, v14
	v_lshrrev_b32_e32 v10, 16, v10
	v_cndmask_b32_e32 v9, v13, v9, vcc
	v_and_or_b32 v7, v8, s17, v7
	v_and_or_b32 v8, v10, s17, v9
	v_and_b32_e32 v7, 0xffff, v7
	v_lshl_or_b32 v7, v8, 16, v7
	global_store_dword v[5:6], v7, off
	global_load_dword v9, v31, s[6:7] offset:56
	ds_read2_b32 v[7:8], v4 offset0:14 offset1:16
	v_mad_u64_u32 v[5:6], s[0:1], s8, v40, 0
	s_waitcnt lgkmcnt(0)
	v_lshrrev_b32_e32 v10, 16, v7
	s_waitcnt vmcnt(0)
	v_mul_f16_sdwa v11, v10, v9 dst_sel:DWORD dst_unused:UNUSED_PAD src0_sel:DWORD src1_sel:WORD_1
	v_fma_f16 v11, v7, v9, v11
	v_mul_f16_sdwa v7, v7, v9 dst_sel:DWORD dst_unused:UNUSED_PAD src0_sel:DWORD src1_sel:WORD_1
	v_cvt_f32_f16_e32 v11, v11
	v_fma_f16 v7, v9, v10, -v7
	v_cvt_f32_f16_e32 v12, v7
	v_mad_u64_u32 v[6:7], s[0:1], s9, v40, v[6:7]
	v_cvt_f64_f32_e32 v[9:10], v11
	v_cvt_f64_f32_e32 v[11:12], v12
	v_lshlrev_b64 v[5:6], 2, v[5:6]
	v_mul_f64 v[9:10], v[9:10], s[14:15]
	v_mul_f64 v[11:12], v[11:12], s[14:15]
	v_add_co_u32_e32 v5, vcc, v1, v5
	v_addc_co_u32_e32 v6, vcc, v3, v6, vcc
	v_and_or_b32 v7, v10, s16, v9
	v_and_or_b32 v11, v12, s16, v11
	v_cmp_ne_u32_e32 vcc, 0, v7
	v_lshrrev_b32_e32 v9, 8, v10
	v_bfe_u32 v13, v10, 20, 11
	v_cndmask_b32_e64 v7, 0, 1, vcc
	v_cmp_ne_u32_e32 vcc, 0, v11
	v_lshrrev_b32_e32 v14, 8, v12
	v_bfe_u32 v15, v12, 20, 11
	v_sub_u32_e32 v16, 0x3f1, v13
	v_cndmask_b32_e64 v11, 0, 1, vcc
	v_and_or_b32 v7, v9, s10, v7
	v_sub_u32_e32 v17, 0x3f1, v15
	v_med3_i32 v9, v16, 0, 13
	v_and_or_b32 v11, v14, s10, v11
	v_or_b32_e32 v16, 0x1000, v7
	v_add_u32_e32 v13, 0xfffffc10, v13
	v_med3_i32 v14, v17, 0, 13
	v_cmp_ne_u32_e32 vcc, 0, v7
	v_or_b32_e32 v18, 0x1000, v11
	v_lshrrev_b32_e32 v20, v9, v16
	v_add_u32_e32 v15, 0xfffffc10, v15
	v_lshl_or_b32 v17, v13, 12, v7
	v_cndmask_b32_e64 v7, 0, 1, vcc
	v_cmp_ne_u32_e32 vcc, 0, v11
	v_lshrrev_b32_e32 v21, v14, v18
	v_lshlrev_b32_e32 v9, v9, v20
	v_lshl_or_b32 v19, v15, 12, v11
	v_cndmask_b32_e64 v11, 0, 1, vcc
	v_lshlrev_b32_e32 v14, v14, v21
	v_cmp_ne_u32_e32 vcc, v9, v16
	v_cndmask_b32_e64 v9, 0, 1, vcc
	v_cmp_ne_u32_e32 vcc, v14, v18
	v_cndmask_b32_e64 v14, 0, 1, vcc
	v_or_b32_e32 v9, v20, v9
	v_cmp_gt_i32_e32 vcc, 1, v13
	v_cndmask_b32_e32 v9, v17, v9, vcc
	v_or_b32_e32 v14, v21, v14
	v_cmp_gt_i32_e32 vcc, 1, v15
	v_and_b32_e32 v16, 7, v9
	v_cndmask_b32_e32 v14, v19, v14, vcc
	v_cmp_lt_i32_e32 vcc, 5, v16
	v_cmp_eq_u32_e64 s[0:1], 3, v16
	v_lshrrev_b32_e32 v9, 2, v9
	v_and_b32_e32 v17, 7, v14
	s_or_b64 vcc, s[0:1], vcc
	v_cmp_lt_i32_e64 s[2:3], 5, v17
	v_cmp_eq_u32_e64 s[4:5], 3, v17
	v_addc_co_u32_e32 v9, vcc, 0, v9, vcc
	v_lshrrev_b32_e32 v14, 2, v14
	s_or_b64 vcc, s[4:5], s[2:3]
	v_addc_co_u32_e32 v14, vcc, 0, v14, vcc
	v_cmp_gt_i32_e32 vcc, 31, v13
	v_cndmask_b32_e32 v9, v2, v9, vcc
	v_cmp_gt_i32_e32 vcc, 31, v15
	v_lshl_or_b32 v7, v7, 9, v2
	v_cndmask_b32_e32 v14, v2, v14, vcc
	v_cmp_eq_u32_e32 vcc, s18, v13
	v_lshrrev_b32_e32 v10, 16, v10
	v_lshl_or_b32 v11, v11, 9, v2
	v_cndmask_b32_e32 v7, v9, v7, vcc
	v_cmp_eq_u32_e32 vcc, s18, v15
	v_lshrrev_b32_e32 v12, 16, v12
	v_cndmask_b32_e32 v9, v14, v11, vcc
	v_and_or_b32 v7, v10, s17, v7
	v_and_or_b32 v9, v12, s17, v9
	v_and_b32_e32 v7, 0xffff, v7
	v_lshl_or_b32 v7, v9, 16, v7
	global_store_dword v[5:6], v7, off
	global_load_dword v7, v31, s[6:7] offset:64
	v_lshrrev_b32_e32 v9, 16, v8
	v_mad_u64_u32 v[5:6], s[0:1], s8, v39, 0
	s_waitcnt vmcnt(0)
	v_mul_f16_sdwa v10, v9, v7 dst_sel:DWORD dst_unused:UNUSED_PAD src0_sel:DWORD src1_sel:WORD_1
	v_fma_f16 v10, v8, v7, v10
	v_cvt_f32_f16_e32 v10, v10
	v_mul_f16_sdwa v8, v8, v7 dst_sel:DWORD dst_unused:UNUSED_PAD src0_sel:DWORD src1_sel:WORD_1
	v_fma_f16 v7, v7, v9, -v8
	v_cvt_f32_f16_e32 v11, v7
	v_cvt_f64_f32_e32 v[7:8], v10
	v_mad_u64_u32 v[9:10], s[0:1], s9, v39, v[6:7]
	v_cvt_f64_f32_e32 v[10:11], v11
	v_mul_f64 v[7:8], v[7:8], s[14:15]
	v_mov_b32_e32 v6, v9
	v_lshlrev_b64 v[5:6], 2, v[5:6]
	v_mul_f64 v[9:10], v[10:11], s[14:15]
	v_add_co_u32_e32 v5, vcc, v1, v5
	v_addc_co_u32_e32 v6, vcc, v3, v6, vcc
	v_and_or_b32 v7, v8, s16, v7
	v_cmp_ne_u32_e32 vcc, 0, v7
	v_lshrrev_b32_e32 v11, 8, v8
	v_and_or_b32 v9, v10, s16, v9
	v_bfe_u32 v12, v8, 20, 11
	v_cndmask_b32_e64 v7, 0, 1, vcc
	v_cmp_ne_u32_e32 vcc, 0, v9
	v_lshrrev_b32_e32 v13, 8, v10
	v_bfe_u32 v14, v10, 20, 11
	v_sub_u32_e32 v15, 0x3f1, v12
	v_cndmask_b32_e64 v9, 0, 1, vcc
	v_and_or_b32 v7, v11, s10, v7
	v_sub_u32_e32 v16, 0x3f1, v14
	v_med3_i32 v11, v15, 0, 13
	v_and_or_b32 v9, v13, s10, v9
	v_or_b32_e32 v15, 0x1000, v7
	v_add_u32_e32 v12, 0xfffffc10, v12
	v_med3_i32 v13, v16, 0, 13
	v_cmp_ne_u32_e32 vcc, 0, v7
	v_or_b32_e32 v17, 0x1000, v9
	v_lshrrev_b32_e32 v19, v11, v15
	v_add_u32_e32 v14, 0xfffffc10, v14
	v_lshl_or_b32 v16, v12, 12, v7
	v_cndmask_b32_e64 v7, 0, 1, vcc
	v_cmp_ne_u32_e32 vcc, 0, v9
	v_lshrrev_b32_e32 v20, v13, v17
	v_lshlrev_b32_e32 v11, v11, v19
	v_lshl_or_b32 v18, v14, 12, v9
	v_cndmask_b32_e64 v9, 0, 1, vcc
	v_lshlrev_b32_e32 v13, v13, v20
	v_cmp_ne_u32_e32 vcc, v11, v15
	v_cndmask_b32_e64 v11, 0, 1, vcc
	v_cmp_ne_u32_e32 vcc, v13, v17
	v_cndmask_b32_e64 v13, 0, 1, vcc
	v_or_b32_e32 v11, v19, v11
	v_cmp_gt_i32_e32 vcc, 1, v12
	v_cndmask_b32_e32 v11, v16, v11, vcc
	v_or_b32_e32 v13, v20, v13
	v_cmp_gt_i32_e32 vcc, 1, v14
	v_and_b32_e32 v15, 7, v11
	v_cndmask_b32_e32 v13, v18, v13, vcc
	v_cmp_lt_i32_e32 vcc, 5, v15
	v_cmp_eq_u32_e64 s[0:1], 3, v15
	v_lshrrev_b32_e32 v11, 2, v11
	v_and_b32_e32 v16, 7, v13
	s_or_b64 vcc, s[0:1], vcc
	v_cmp_lt_i32_e64 s[2:3], 5, v16
	v_cmp_eq_u32_e64 s[4:5], 3, v16
	v_addc_co_u32_e32 v11, vcc, 0, v11, vcc
	v_lshrrev_b32_e32 v13, 2, v13
	s_or_b64 vcc, s[4:5], s[2:3]
	v_addc_co_u32_e32 v13, vcc, 0, v13, vcc
	v_cmp_gt_i32_e32 vcc, 31, v12
	v_cndmask_b32_e32 v11, v2, v11, vcc
	v_cmp_gt_i32_e32 vcc, 31, v14
	v_lshl_or_b32 v7, v7, 9, v2
	v_cndmask_b32_e32 v13, v2, v13, vcc
	v_cmp_eq_u32_e32 vcc, s18, v12
	v_lshrrev_b32_e32 v8, 16, v8
	v_lshl_or_b32 v9, v9, 9, v2
	v_cndmask_b32_e32 v7, v11, v7, vcc
	v_cmp_eq_u32_e32 vcc, s18, v14
	v_lshrrev_b32_e32 v10, 16, v10
	v_cndmask_b32_e32 v9, v13, v9, vcc
	v_and_or_b32 v7, v8, s17, v7
	v_and_or_b32 v8, v10, s17, v9
	v_and_b32_e32 v7, 0xffff, v7
	v_lshl_or_b32 v7, v8, 16, v7
	global_store_dword v[5:6], v7, off
	global_load_dword v9, v31, s[6:7] offset:72
	ds_read2_b32 v[7:8], v4 offset0:18 offset1:20
	v_mad_u64_u32 v[5:6], s[0:1], s8, v38, 0
	s_waitcnt lgkmcnt(0)
	v_lshrrev_b32_e32 v10, 16, v7
	s_waitcnt vmcnt(0)
	v_mul_f16_sdwa v11, v10, v9 dst_sel:DWORD dst_unused:UNUSED_PAD src0_sel:DWORD src1_sel:WORD_1
	v_fma_f16 v11, v7, v9, v11
	v_mul_f16_sdwa v7, v7, v9 dst_sel:DWORD dst_unused:UNUSED_PAD src0_sel:DWORD src1_sel:WORD_1
	v_cvt_f32_f16_e32 v11, v11
	v_fma_f16 v7, v9, v10, -v7
	v_cvt_f32_f16_e32 v12, v7
	v_mad_u64_u32 v[6:7], s[0:1], s9, v38, v[6:7]
	v_cvt_f64_f32_e32 v[9:10], v11
	v_cvt_f64_f32_e32 v[11:12], v12
	v_lshlrev_b64 v[5:6], 2, v[5:6]
	v_mul_f64 v[9:10], v[9:10], s[14:15]
	v_mul_f64 v[11:12], v[11:12], s[14:15]
	v_add_co_u32_e32 v5, vcc, v1, v5
	v_addc_co_u32_e32 v6, vcc, v3, v6, vcc
	v_and_or_b32 v7, v10, s16, v9
	v_and_or_b32 v11, v12, s16, v11
	v_cmp_ne_u32_e32 vcc, 0, v7
	v_lshrrev_b32_e32 v9, 8, v10
	v_bfe_u32 v13, v10, 20, 11
	v_cndmask_b32_e64 v7, 0, 1, vcc
	v_cmp_ne_u32_e32 vcc, 0, v11
	v_lshrrev_b32_e32 v14, 8, v12
	v_bfe_u32 v15, v12, 20, 11
	v_sub_u32_e32 v16, 0x3f1, v13
	v_cndmask_b32_e64 v11, 0, 1, vcc
	v_and_or_b32 v7, v9, s10, v7
	v_sub_u32_e32 v17, 0x3f1, v15
	v_med3_i32 v9, v16, 0, 13
	v_and_or_b32 v11, v14, s10, v11
	v_or_b32_e32 v16, 0x1000, v7
	v_add_u32_e32 v13, 0xfffffc10, v13
	v_med3_i32 v14, v17, 0, 13
	v_cmp_ne_u32_e32 vcc, 0, v7
	v_or_b32_e32 v18, 0x1000, v11
	v_lshrrev_b32_e32 v20, v9, v16
	v_add_u32_e32 v15, 0xfffffc10, v15
	v_lshl_or_b32 v17, v13, 12, v7
	v_cndmask_b32_e64 v7, 0, 1, vcc
	v_cmp_ne_u32_e32 vcc, 0, v11
	v_lshrrev_b32_e32 v21, v14, v18
	v_lshlrev_b32_e32 v9, v9, v20
	v_lshl_or_b32 v19, v15, 12, v11
	v_cndmask_b32_e64 v11, 0, 1, vcc
	v_lshlrev_b32_e32 v14, v14, v21
	v_cmp_ne_u32_e32 vcc, v9, v16
	v_cndmask_b32_e64 v9, 0, 1, vcc
	v_cmp_ne_u32_e32 vcc, v14, v18
	v_cndmask_b32_e64 v14, 0, 1, vcc
	v_or_b32_e32 v9, v20, v9
	v_cmp_gt_i32_e32 vcc, 1, v13
	v_cndmask_b32_e32 v9, v17, v9, vcc
	v_or_b32_e32 v14, v21, v14
	v_cmp_gt_i32_e32 vcc, 1, v15
	v_and_b32_e32 v16, 7, v9
	v_cndmask_b32_e32 v14, v19, v14, vcc
	v_cmp_lt_i32_e32 vcc, 5, v16
	v_cmp_eq_u32_e64 s[0:1], 3, v16
	v_lshrrev_b32_e32 v9, 2, v9
	v_and_b32_e32 v17, 7, v14
	s_or_b64 vcc, s[0:1], vcc
	v_cmp_lt_i32_e64 s[2:3], 5, v17
	v_cmp_eq_u32_e64 s[4:5], 3, v17
	v_addc_co_u32_e32 v9, vcc, 0, v9, vcc
	v_lshrrev_b32_e32 v14, 2, v14
	s_or_b64 vcc, s[4:5], s[2:3]
	v_addc_co_u32_e32 v14, vcc, 0, v14, vcc
	v_cmp_gt_i32_e32 vcc, 31, v13
	v_cndmask_b32_e32 v9, v2, v9, vcc
	v_cmp_gt_i32_e32 vcc, 31, v15
	v_lshl_or_b32 v7, v7, 9, v2
	v_cndmask_b32_e32 v14, v2, v14, vcc
	v_cmp_eq_u32_e32 vcc, s18, v13
	v_lshrrev_b32_e32 v10, 16, v10
	v_lshl_or_b32 v11, v11, 9, v2
	v_cndmask_b32_e32 v7, v9, v7, vcc
	v_cmp_eq_u32_e32 vcc, s18, v15
	v_lshrrev_b32_e32 v12, 16, v12
	v_cndmask_b32_e32 v9, v14, v11, vcc
	v_and_or_b32 v7, v10, s17, v7
	v_and_or_b32 v9, v12, s17, v9
	v_and_b32_e32 v7, 0xffff, v7
	v_lshl_or_b32 v7, v9, 16, v7
	global_store_dword v[5:6], v7, off
	global_load_dword v7, v31, s[6:7] offset:80
	v_lshrrev_b32_e32 v9, 16, v8
	v_mad_u64_u32 v[5:6], s[0:1], s8, v37, 0
	s_waitcnt vmcnt(0)
	v_mul_f16_sdwa v10, v9, v7 dst_sel:DWORD dst_unused:UNUSED_PAD src0_sel:DWORD src1_sel:WORD_1
	v_fma_f16 v10, v8, v7, v10
	v_cvt_f32_f16_e32 v10, v10
	v_mul_f16_sdwa v8, v8, v7 dst_sel:DWORD dst_unused:UNUSED_PAD src0_sel:DWORD src1_sel:WORD_1
	v_fma_f16 v7, v7, v9, -v8
	v_cvt_f32_f16_e32 v11, v7
	v_cvt_f64_f32_e32 v[7:8], v10
	v_mad_u64_u32 v[9:10], s[0:1], s9, v37, v[6:7]
	v_cvt_f64_f32_e32 v[10:11], v11
	v_mul_f64 v[7:8], v[7:8], s[14:15]
	v_mov_b32_e32 v6, v9
	v_lshlrev_b64 v[5:6], 2, v[5:6]
	v_mul_f64 v[9:10], v[10:11], s[14:15]
	v_add_co_u32_e32 v5, vcc, v1, v5
	v_addc_co_u32_e32 v6, vcc, v3, v6, vcc
	v_and_or_b32 v7, v8, s16, v7
	v_cmp_ne_u32_e32 vcc, 0, v7
	v_lshrrev_b32_e32 v11, 8, v8
	v_and_or_b32 v9, v10, s16, v9
	v_bfe_u32 v12, v8, 20, 11
	v_cndmask_b32_e64 v7, 0, 1, vcc
	v_cmp_ne_u32_e32 vcc, 0, v9
	v_lshrrev_b32_e32 v13, 8, v10
	v_bfe_u32 v14, v10, 20, 11
	v_sub_u32_e32 v15, 0x3f1, v12
	v_cndmask_b32_e64 v9, 0, 1, vcc
	v_and_or_b32 v7, v11, s10, v7
	v_sub_u32_e32 v16, 0x3f1, v14
	v_med3_i32 v11, v15, 0, 13
	v_and_or_b32 v9, v13, s10, v9
	v_or_b32_e32 v15, 0x1000, v7
	v_add_u32_e32 v12, 0xfffffc10, v12
	v_med3_i32 v13, v16, 0, 13
	v_cmp_ne_u32_e32 vcc, 0, v7
	v_or_b32_e32 v17, 0x1000, v9
	v_lshrrev_b32_e32 v19, v11, v15
	v_add_u32_e32 v14, 0xfffffc10, v14
	v_lshl_or_b32 v16, v12, 12, v7
	v_cndmask_b32_e64 v7, 0, 1, vcc
	v_cmp_ne_u32_e32 vcc, 0, v9
	v_lshrrev_b32_e32 v20, v13, v17
	v_lshlrev_b32_e32 v11, v11, v19
	v_lshl_or_b32 v18, v14, 12, v9
	v_cndmask_b32_e64 v9, 0, 1, vcc
	v_lshlrev_b32_e32 v13, v13, v20
	v_cmp_ne_u32_e32 vcc, v11, v15
	v_cndmask_b32_e64 v11, 0, 1, vcc
	v_cmp_ne_u32_e32 vcc, v13, v17
	v_cndmask_b32_e64 v13, 0, 1, vcc
	v_or_b32_e32 v11, v19, v11
	v_cmp_gt_i32_e32 vcc, 1, v12
	v_cndmask_b32_e32 v11, v16, v11, vcc
	v_or_b32_e32 v13, v20, v13
	v_cmp_gt_i32_e32 vcc, 1, v14
	v_and_b32_e32 v15, 7, v11
	v_cndmask_b32_e32 v13, v18, v13, vcc
	v_cmp_lt_i32_e32 vcc, 5, v15
	v_cmp_eq_u32_e64 s[0:1], 3, v15
	v_lshrrev_b32_e32 v11, 2, v11
	v_and_b32_e32 v16, 7, v13
	s_or_b64 vcc, s[0:1], vcc
	v_cmp_lt_i32_e64 s[2:3], 5, v16
	v_cmp_eq_u32_e64 s[4:5], 3, v16
	v_addc_co_u32_e32 v11, vcc, 0, v11, vcc
	v_lshrrev_b32_e32 v13, 2, v13
	s_or_b64 vcc, s[4:5], s[2:3]
	v_addc_co_u32_e32 v13, vcc, 0, v13, vcc
	v_cmp_gt_i32_e32 vcc, 31, v12
	v_cndmask_b32_e32 v11, v2, v11, vcc
	v_cmp_gt_i32_e32 vcc, 31, v14
	v_lshl_or_b32 v7, v7, 9, v2
	v_cndmask_b32_e32 v13, v2, v13, vcc
	v_cmp_eq_u32_e32 vcc, s18, v12
	v_lshrrev_b32_e32 v8, 16, v8
	v_lshl_or_b32 v9, v9, 9, v2
	v_cndmask_b32_e32 v7, v11, v7, vcc
	v_cmp_eq_u32_e32 vcc, s18, v14
	v_lshrrev_b32_e32 v10, 16, v10
	v_cndmask_b32_e32 v9, v13, v9, vcc
	v_and_or_b32 v7, v8, s17, v7
	v_and_or_b32 v8, v10, s17, v9
	v_and_b32_e32 v7, 0xffff, v7
	v_lshl_or_b32 v7, v8, 16, v7
	global_store_dword v[5:6], v7, off
	global_load_dword v9, v31, s[6:7] offset:88
	ds_read2_b32 v[7:8], v4 offset0:22 offset1:24
	v_mad_u64_u32 v[5:6], s[0:1], s8, v36, 0
	s_waitcnt lgkmcnt(0)
	v_lshrrev_b32_e32 v10, 16, v7
	s_waitcnt vmcnt(0)
	v_mul_f16_sdwa v11, v10, v9 dst_sel:DWORD dst_unused:UNUSED_PAD src0_sel:DWORD src1_sel:WORD_1
	v_fma_f16 v11, v7, v9, v11
	v_mul_f16_sdwa v7, v7, v9 dst_sel:DWORD dst_unused:UNUSED_PAD src0_sel:DWORD src1_sel:WORD_1
	v_cvt_f32_f16_e32 v11, v11
	v_fma_f16 v7, v9, v10, -v7
	v_cvt_f32_f16_e32 v12, v7
	v_mad_u64_u32 v[6:7], s[0:1], s9, v36, v[6:7]
	v_cvt_f64_f32_e32 v[9:10], v11
	v_cvt_f64_f32_e32 v[11:12], v12
	v_lshlrev_b64 v[5:6], 2, v[5:6]
	v_mul_f64 v[9:10], v[9:10], s[14:15]
	v_mul_f64 v[11:12], v[11:12], s[14:15]
	v_add_co_u32_e32 v5, vcc, v1, v5
	v_addc_co_u32_e32 v6, vcc, v3, v6, vcc
	v_and_or_b32 v7, v10, s16, v9
	v_and_or_b32 v11, v12, s16, v11
	v_cmp_ne_u32_e32 vcc, 0, v7
	v_lshrrev_b32_e32 v9, 8, v10
	v_bfe_u32 v13, v10, 20, 11
	v_cndmask_b32_e64 v7, 0, 1, vcc
	v_cmp_ne_u32_e32 vcc, 0, v11
	v_lshrrev_b32_e32 v14, 8, v12
	v_bfe_u32 v15, v12, 20, 11
	v_sub_u32_e32 v16, 0x3f1, v13
	v_cndmask_b32_e64 v11, 0, 1, vcc
	v_and_or_b32 v7, v9, s10, v7
	v_sub_u32_e32 v17, 0x3f1, v15
	v_med3_i32 v9, v16, 0, 13
	v_and_or_b32 v11, v14, s10, v11
	v_or_b32_e32 v16, 0x1000, v7
	v_add_u32_e32 v13, 0xfffffc10, v13
	v_med3_i32 v14, v17, 0, 13
	v_cmp_ne_u32_e32 vcc, 0, v7
	v_or_b32_e32 v18, 0x1000, v11
	v_lshrrev_b32_e32 v20, v9, v16
	v_add_u32_e32 v15, 0xfffffc10, v15
	v_lshl_or_b32 v17, v13, 12, v7
	v_cndmask_b32_e64 v7, 0, 1, vcc
	v_cmp_ne_u32_e32 vcc, 0, v11
	v_lshrrev_b32_e32 v21, v14, v18
	v_lshlrev_b32_e32 v9, v9, v20
	v_lshl_or_b32 v19, v15, 12, v11
	v_cndmask_b32_e64 v11, 0, 1, vcc
	v_lshlrev_b32_e32 v14, v14, v21
	v_cmp_ne_u32_e32 vcc, v9, v16
	v_cndmask_b32_e64 v9, 0, 1, vcc
	v_cmp_ne_u32_e32 vcc, v14, v18
	v_cndmask_b32_e64 v14, 0, 1, vcc
	v_or_b32_e32 v9, v20, v9
	v_cmp_gt_i32_e32 vcc, 1, v13
	v_cndmask_b32_e32 v9, v17, v9, vcc
	v_or_b32_e32 v14, v21, v14
	v_cmp_gt_i32_e32 vcc, 1, v15
	v_and_b32_e32 v16, 7, v9
	v_cndmask_b32_e32 v14, v19, v14, vcc
	v_cmp_lt_i32_e32 vcc, 5, v16
	v_cmp_eq_u32_e64 s[0:1], 3, v16
	v_lshrrev_b32_e32 v9, 2, v9
	v_and_b32_e32 v17, 7, v14
	s_or_b64 vcc, s[0:1], vcc
	v_cmp_lt_i32_e64 s[2:3], 5, v17
	v_cmp_eq_u32_e64 s[4:5], 3, v17
	v_addc_co_u32_e32 v9, vcc, 0, v9, vcc
	v_lshrrev_b32_e32 v14, 2, v14
	s_or_b64 vcc, s[4:5], s[2:3]
	v_addc_co_u32_e32 v14, vcc, 0, v14, vcc
	v_cmp_gt_i32_e32 vcc, 31, v13
	v_cndmask_b32_e32 v9, v2, v9, vcc
	v_cmp_gt_i32_e32 vcc, 31, v15
	v_lshl_or_b32 v7, v7, 9, v2
	v_cndmask_b32_e32 v14, v2, v14, vcc
	v_cmp_eq_u32_e32 vcc, s18, v13
	v_lshrrev_b32_e32 v10, 16, v10
	v_lshl_or_b32 v11, v11, 9, v2
	v_cndmask_b32_e32 v7, v9, v7, vcc
	v_cmp_eq_u32_e32 vcc, s18, v15
	v_lshrrev_b32_e32 v12, 16, v12
	v_cndmask_b32_e32 v9, v14, v11, vcc
	v_and_or_b32 v7, v10, s17, v7
	v_and_or_b32 v9, v12, s17, v9
	v_and_b32_e32 v7, 0xffff, v7
	v_lshl_or_b32 v7, v9, 16, v7
	global_store_dword v[5:6], v7, off
	global_load_dword v7, v31, s[6:7] offset:96
	v_lshrrev_b32_e32 v9, 16, v8
	v_mad_u64_u32 v[5:6], s[0:1], s8, v35, 0
	s_waitcnt vmcnt(0)
	v_mul_f16_sdwa v10, v9, v7 dst_sel:DWORD dst_unused:UNUSED_PAD src0_sel:DWORD src1_sel:WORD_1
	v_fma_f16 v10, v8, v7, v10
	v_cvt_f32_f16_e32 v10, v10
	v_mul_f16_sdwa v8, v8, v7 dst_sel:DWORD dst_unused:UNUSED_PAD src0_sel:DWORD src1_sel:WORD_1
	v_fma_f16 v7, v7, v9, -v8
	v_cvt_f32_f16_e32 v11, v7
	v_cvt_f64_f32_e32 v[7:8], v10
	v_mad_u64_u32 v[9:10], s[0:1], s9, v35, v[6:7]
	v_cvt_f64_f32_e32 v[10:11], v11
	v_mul_f64 v[7:8], v[7:8], s[14:15]
	v_mov_b32_e32 v6, v9
	v_lshlrev_b64 v[5:6], 2, v[5:6]
	v_mul_f64 v[9:10], v[10:11], s[14:15]
	v_add_co_u32_e32 v5, vcc, v1, v5
	v_addc_co_u32_e32 v6, vcc, v3, v6, vcc
	v_and_or_b32 v7, v8, s16, v7
	v_cmp_ne_u32_e32 vcc, 0, v7
	v_lshrrev_b32_e32 v11, 8, v8
	v_and_or_b32 v9, v10, s16, v9
	v_bfe_u32 v12, v8, 20, 11
	v_cndmask_b32_e64 v7, 0, 1, vcc
	v_cmp_ne_u32_e32 vcc, 0, v9
	v_lshrrev_b32_e32 v13, 8, v10
	v_bfe_u32 v14, v10, 20, 11
	v_sub_u32_e32 v15, 0x3f1, v12
	v_cndmask_b32_e64 v9, 0, 1, vcc
	v_and_or_b32 v7, v11, s10, v7
	v_sub_u32_e32 v16, 0x3f1, v14
	v_med3_i32 v11, v15, 0, 13
	v_and_or_b32 v9, v13, s10, v9
	v_or_b32_e32 v15, 0x1000, v7
	v_add_u32_e32 v12, 0xfffffc10, v12
	v_med3_i32 v13, v16, 0, 13
	v_cmp_ne_u32_e32 vcc, 0, v7
	v_or_b32_e32 v17, 0x1000, v9
	v_lshrrev_b32_e32 v19, v11, v15
	v_add_u32_e32 v14, 0xfffffc10, v14
	v_lshl_or_b32 v16, v12, 12, v7
	v_cndmask_b32_e64 v7, 0, 1, vcc
	v_cmp_ne_u32_e32 vcc, 0, v9
	v_lshrrev_b32_e32 v20, v13, v17
	v_lshlrev_b32_e32 v11, v11, v19
	v_lshl_or_b32 v18, v14, 12, v9
	v_cndmask_b32_e64 v9, 0, 1, vcc
	v_lshlrev_b32_e32 v13, v13, v20
	v_cmp_ne_u32_e32 vcc, v11, v15
	v_cndmask_b32_e64 v11, 0, 1, vcc
	v_cmp_ne_u32_e32 vcc, v13, v17
	v_cndmask_b32_e64 v13, 0, 1, vcc
	v_or_b32_e32 v11, v19, v11
	v_cmp_gt_i32_e32 vcc, 1, v12
	v_cndmask_b32_e32 v11, v16, v11, vcc
	v_or_b32_e32 v13, v20, v13
	v_cmp_gt_i32_e32 vcc, 1, v14
	v_and_b32_e32 v15, 7, v11
	v_cndmask_b32_e32 v13, v18, v13, vcc
	v_cmp_lt_i32_e32 vcc, 5, v15
	v_cmp_eq_u32_e64 s[0:1], 3, v15
	v_lshrrev_b32_e32 v11, 2, v11
	v_and_b32_e32 v16, 7, v13
	s_or_b64 vcc, s[0:1], vcc
	v_cmp_lt_i32_e64 s[2:3], 5, v16
	v_cmp_eq_u32_e64 s[4:5], 3, v16
	v_addc_co_u32_e32 v11, vcc, 0, v11, vcc
	v_lshrrev_b32_e32 v13, 2, v13
	s_or_b64 vcc, s[4:5], s[2:3]
	v_addc_co_u32_e32 v13, vcc, 0, v13, vcc
	v_cmp_gt_i32_e32 vcc, 31, v12
	v_cndmask_b32_e32 v11, v2, v11, vcc
	v_cmp_gt_i32_e32 vcc, 31, v14
	v_lshl_or_b32 v7, v7, 9, v2
	v_cndmask_b32_e32 v13, v2, v13, vcc
	v_cmp_eq_u32_e32 vcc, s18, v12
	v_lshrrev_b32_e32 v8, 16, v8
	v_lshl_or_b32 v9, v9, 9, v2
	v_cndmask_b32_e32 v7, v11, v7, vcc
	v_cmp_eq_u32_e32 vcc, s18, v14
	v_lshrrev_b32_e32 v10, 16, v10
	v_cndmask_b32_e32 v9, v13, v9, vcc
	v_and_or_b32 v7, v8, s17, v7
	v_and_or_b32 v8, v10, s17, v9
	v_and_b32_e32 v7, 0xffff, v7
	v_lshl_or_b32 v7, v8, 16, v7
	global_store_dword v[5:6], v7, off
	global_load_dword v9, v31, s[6:7] offset:104
	ds_read2_b32 v[7:8], v4 offset0:26 offset1:28
	v_mad_u64_u32 v[5:6], s[0:1], s8, v34, 0
	s_waitcnt lgkmcnt(0)
	v_lshrrev_b32_e32 v10, 16, v7
	s_waitcnt vmcnt(0)
	v_mul_f16_sdwa v11, v10, v9 dst_sel:DWORD dst_unused:UNUSED_PAD src0_sel:DWORD src1_sel:WORD_1
	v_fma_f16 v11, v7, v9, v11
	v_mul_f16_sdwa v7, v7, v9 dst_sel:DWORD dst_unused:UNUSED_PAD src0_sel:DWORD src1_sel:WORD_1
	v_cvt_f32_f16_e32 v11, v11
	v_fma_f16 v7, v9, v10, -v7
	v_cvt_f32_f16_e32 v12, v7
	v_mad_u64_u32 v[6:7], s[0:1], s9, v34, v[6:7]
	v_cvt_f64_f32_e32 v[9:10], v11
	v_cvt_f64_f32_e32 v[11:12], v12
	v_lshlrev_b64 v[5:6], 2, v[5:6]
	v_mul_f64 v[9:10], v[9:10], s[14:15]
	v_mul_f64 v[11:12], v[11:12], s[14:15]
	v_add_co_u32_e32 v5, vcc, v1, v5
	v_addc_co_u32_e32 v6, vcc, v3, v6, vcc
	v_and_or_b32 v7, v10, s16, v9
	v_and_or_b32 v11, v12, s16, v11
	v_cmp_ne_u32_e32 vcc, 0, v7
	v_lshrrev_b32_e32 v9, 8, v10
	v_bfe_u32 v13, v10, 20, 11
	v_cndmask_b32_e64 v7, 0, 1, vcc
	v_cmp_ne_u32_e32 vcc, 0, v11
	v_lshrrev_b32_e32 v14, 8, v12
	v_bfe_u32 v15, v12, 20, 11
	v_sub_u32_e32 v16, 0x3f1, v13
	v_cndmask_b32_e64 v11, 0, 1, vcc
	v_and_or_b32 v7, v9, s10, v7
	v_sub_u32_e32 v17, 0x3f1, v15
	v_med3_i32 v9, v16, 0, 13
	v_and_or_b32 v11, v14, s10, v11
	v_or_b32_e32 v16, 0x1000, v7
	v_add_u32_e32 v13, 0xfffffc10, v13
	v_med3_i32 v14, v17, 0, 13
	v_cmp_ne_u32_e32 vcc, 0, v7
	v_or_b32_e32 v18, 0x1000, v11
	v_lshrrev_b32_e32 v20, v9, v16
	v_add_u32_e32 v15, 0xfffffc10, v15
	v_lshl_or_b32 v17, v13, 12, v7
	v_cndmask_b32_e64 v7, 0, 1, vcc
	v_cmp_ne_u32_e32 vcc, 0, v11
	v_lshrrev_b32_e32 v21, v14, v18
	v_lshlrev_b32_e32 v9, v9, v20
	v_lshl_or_b32 v19, v15, 12, v11
	v_cndmask_b32_e64 v11, 0, 1, vcc
	v_lshlrev_b32_e32 v14, v14, v21
	v_cmp_ne_u32_e32 vcc, v9, v16
	v_cndmask_b32_e64 v9, 0, 1, vcc
	v_cmp_ne_u32_e32 vcc, v14, v18
	v_cndmask_b32_e64 v14, 0, 1, vcc
	v_or_b32_e32 v9, v20, v9
	v_cmp_gt_i32_e32 vcc, 1, v13
	v_cndmask_b32_e32 v9, v17, v9, vcc
	v_or_b32_e32 v14, v21, v14
	v_cmp_gt_i32_e32 vcc, 1, v15
	v_and_b32_e32 v16, 7, v9
	v_cndmask_b32_e32 v14, v19, v14, vcc
	v_cmp_lt_i32_e32 vcc, 5, v16
	v_cmp_eq_u32_e64 s[0:1], 3, v16
	v_lshrrev_b32_e32 v9, 2, v9
	v_and_b32_e32 v17, 7, v14
	s_or_b64 vcc, s[0:1], vcc
	v_cmp_lt_i32_e64 s[2:3], 5, v17
	v_cmp_eq_u32_e64 s[4:5], 3, v17
	v_addc_co_u32_e32 v9, vcc, 0, v9, vcc
	v_lshrrev_b32_e32 v14, 2, v14
	s_or_b64 vcc, s[4:5], s[2:3]
	v_addc_co_u32_e32 v14, vcc, 0, v14, vcc
	v_cmp_gt_i32_e32 vcc, 31, v13
	v_cndmask_b32_e32 v9, v2, v9, vcc
	v_cmp_gt_i32_e32 vcc, 31, v15
	v_lshl_or_b32 v7, v7, 9, v2
	v_cndmask_b32_e32 v14, v2, v14, vcc
	v_cmp_eq_u32_e32 vcc, s18, v13
	v_lshrrev_b32_e32 v10, 16, v10
	v_lshl_or_b32 v11, v11, 9, v2
	v_cndmask_b32_e32 v7, v9, v7, vcc
	v_cmp_eq_u32_e32 vcc, s18, v15
	v_lshrrev_b32_e32 v12, 16, v12
	v_cndmask_b32_e32 v9, v14, v11, vcc
	v_and_or_b32 v7, v10, s17, v7
	v_and_or_b32 v9, v12, s17, v9
	v_and_b32_e32 v7, 0xffff, v7
	v_lshl_or_b32 v7, v9, 16, v7
	global_store_dword v[5:6], v7, off
	global_load_dword v7, v31, s[6:7] offset:112
	v_lshrrev_b32_e32 v9, 16, v8
	v_mad_u64_u32 v[5:6], s[0:1], s8, v33, 0
	s_waitcnt vmcnt(0)
	v_mul_f16_sdwa v10, v9, v7 dst_sel:DWORD dst_unused:UNUSED_PAD src0_sel:DWORD src1_sel:WORD_1
	v_fma_f16 v10, v8, v7, v10
	v_cvt_f32_f16_e32 v10, v10
	v_mul_f16_sdwa v8, v8, v7 dst_sel:DWORD dst_unused:UNUSED_PAD src0_sel:DWORD src1_sel:WORD_1
	v_fma_f16 v7, v7, v9, -v8
	v_cvt_f32_f16_e32 v11, v7
	v_cvt_f64_f32_e32 v[7:8], v10
	v_mad_u64_u32 v[9:10], s[0:1], s9, v33, v[6:7]
	v_cvt_f64_f32_e32 v[10:11], v11
	v_mul_f64 v[7:8], v[7:8], s[14:15]
	v_mov_b32_e32 v6, v9
	v_lshlrev_b64 v[5:6], 2, v[5:6]
	v_mul_f64 v[9:10], v[10:11], s[14:15]
	v_add_co_u32_e32 v5, vcc, v1, v5
	v_addc_co_u32_e32 v6, vcc, v3, v6, vcc
	v_and_or_b32 v7, v8, s16, v7
	v_cmp_ne_u32_e32 vcc, 0, v7
	v_lshrrev_b32_e32 v11, 8, v8
	v_and_or_b32 v9, v10, s16, v9
	v_bfe_u32 v12, v8, 20, 11
	v_cndmask_b32_e64 v7, 0, 1, vcc
	v_cmp_ne_u32_e32 vcc, 0, v9
	v_lshrrev_b32_e32 v13, 8, v10
	v_bfe_u32 v14, v10, 20, 11
	v_sub_u32_e32 v15, 0x3f1, v12
	v_cndmask_b32_e64 v9, 0, 1, vcc
	v_and_or_b32 v7, v11, s10, v7
	v_sub_u32_e32 v16, 0x3f1, v14
	v_med3_i32 v11, v15, 0, 13
	v_and_or_b32 v9, v13, s10, v9
	v_or_b32_e32 v15, 0x1000, v7
	v_add_u32_e32 v12, 0xfffffc10, v12
	v_med3_i32 v13, v16, 0, 13
	v_cmp_ne_u32_e32 vcc, 0, v7
	v_or_b32_e32 v17, 0x1000, v9
	v_lshrrev_b32_e32 v19, v11, v15
	v_add_u32_e32 v14, 0xfffffc10, v14
	v_lshl_or_b32 v16, v12, 12, v7
	v_cndmask_b32_e64 v7, 0, 1, vcc
	v_cmp_ne_u32_e32 vcc, 0, v9
	v_lshrrev_b32_e32 v20, v13, v17
	v_lshlrev_b32_e32 v11, v11, v19
	v_lshl_or_b32 v18, v14, 12, v9
	v_cndmask_b32_e64 v9, 0, 1, vcc
	v_lshlrev_b32_e32 v13, v13, v20
	v_cmp_ne_u32_e32 vcc, v11, v15
	v_cndmask_b32_e64 v11, 0, 1, vcc
	v_cmp_ne_u32_e32 vcc, v13, v17
	v_cndmask_b32_e64 v13, 0, 1, vcc
	v_or_b32_e32 v11, v19, v11
	v_cmp_gt_i32_e32 vcc, 1, v12
	v_cndmask_b32_e32 v11, v16, v11, vcc
	v_or_b32_e32 v13, v20, v13
	v_cmp_gt_i32_e32 vcc, 1, v14
	v_and_b32_e32 v15, 7, v11
	v_cndmask_b32_e32 v13, v18, v13, vcc
	v_cmp_lt_i32_e32 vcc, 5, v15
	v_cmp_eq_u32_e64 s[0:1], 3, v15
	v_lshrrev_b32_e32 v11, 2, v11
	v_and_b32_e32 v16, 7, v13
	s_or_b64 vcc, s[0:1], vcc
	v_cmp_lt_i32_e64 s[2:3], 5, v16
	v_cmp_eq_u32_e64 s[4:5], 3, v16
	v_addc_co_u32_e32 v11, vcc, 0, v11, vcc
	v_lshrrev_b32_e32 v13, 2, v13
	s_or_b64 vcc, s[4:5], s[2:3]
	v_addc_co_u32_e32 v13, vcc, 0, v13, vcc
	v_cmp_gt_i32_e32 vcc, 31, v12
	v_cndmask_b32_e32 v11, v2, v11, vcc
	v_cmp_gt_i32_e32 vcc, 31, v14
	v_lshl_or_b32 v7, v7, 9, v2
	v_cndmask_b32_e32 v13, v2, v13, vcc
	v_cmp_eq_u32_e32 vcc, s18, v12
	v_lshrrev_b32_e32 v8, 16, v8
	v_lshl_or_b32 v9, v9, 9, v2
	v_cndmask_b32_e32 v7, v11, v7, vcc
	v_cmp_eq_u32_e32 vcc, s18, v14
	v_lshrrev_b32_e32 v10, 16, v10
	v_cndmask_b32_e32 v9, v13, v9, vcc
	v_and_or_b32 v7, v8, s17, v7
	v_and_or_b32 v8, v10, s17, v9
	v_and_b32_e32 v7, 0xffff, v7
	v_lshl_or_b32 v7, v8, 16, v7
	global_store_dword v[5:6], v7, off
	global_load_dword v9, v31, s[6:7] offset:120
	ds_read2_b32 v[7:8], v4 offset0:30 offset1:32
	v_mad_u64_u32 v[5:6], s[0:1], s8, v32, 0
	v_mov_b32_e32 v4, v6
	s_waitcnt lgkmcnt(0)
	v_lshrrev_b32_e32 v6, 16, v7
	s_waitcnt vmcnt(0)
	v_mul_f16_sdwa v10, v6, v9 dst_sel:DWORD dst_unused:UNUSED_PAD src0_sel:DWORD src1_sel:WORD_1
	v_fma_f16 v10, v7, v9, v10
	v_mul_f16_sdwa v7, v7, v9 dst_sel:DWORD dst_unused:UNUSED_PAD src0_sel:DWORD src1_sel:WORD_1
	v_cvt_f32_f16_e32 v10, v10
	v_fma_f16 v6, v9, v6, -v7
	v_cvt_f32_f16_e32 v11, v6
	v_cvt_f64_f32_e32 v[6:7], v10
	v_mad_u64_u32 v[9:10], s[0:1], s9, v32, v[4:5]
	v_cvt_f64_f32_e32 v[10:11], v11
	v_mul_f64 v[12:13], v[6:7], s[14:15]
	v_mov_b32_e32 v6, v9
	v_lshlrev_b64 v[4:5], 2, v[5:6]
	v_mul_f64 v[6:7], v[10:11], s[14:15]
	v_add_co_u32_e32 v4, vcc, v1, v4
	v_addc_co_u32_e32 v5, vcc, v3, v5, vcc
	v_and_or_b32 v9, v13, s16, v12
	v_cmp_ne_u32_e32 vcc, 0, v9
	v_lshrrev_b32_e32 v10, 8, v13
	v_and_or_b32 v6, v7, s16, v6
	v_bfe_u32 v11, v13, 20, 11
	v_cndmask_b32_e64 v9, 0, 1, vcc
	v_cmp_ne_u32_e32 vcc, 0, v6
	v_lshrrev_b32_e32 v12, 16, v13
	v_lshrrev_b32_e32 v13, 8, v7
	v_bfe_u32 v14, v7, 20, 11
	v_sub_u32_e32 v15, 0x3f1, v11
	v_cndmask_b32_e64 v6, 0, 1, vcc
	v_and_or_b32 v9, v10, s10, v9
	v_sub_u32_e32 v16, 0x3f1, v14
	v_med3_i32 v10, v15, 0, 13
	v_and_or_b32 v6, v13, s10, v6
	v_or_b32_e32 v15, 0x1000, v9
	v_add_u32_e32 v11, 0xfffffc10, v11
	v_med3_i32 v13, v16, 0, 13
	v_cmp_ne_u32_e32 vcc, 0, v9
	v_or_b32_e32 v17, 0x1000, v6
	v_lshrrev_b32_e32 v19, v10, v15
	v_add_u32_e32 v14, 0xfffffc10, v14
	v_lshl_or_b32 v16, v11, 12, v9
	v_cndmask_b32_e64 v9, 0, 1, vcc
	v_cmp_ne_u32_e32 vcc, 0, v6
	v_lshrrev_b32_e32 v20, v13, v17
	v_lshlrev_b32_e32 v10, v10, v19
	v_lshl_or_b32 v18, v14, 12, v6
	v_cndmask_b32_e64 v6, 0, 1, vcc
	v_lshlrev_b32_e32 v13, v13, v20
	v_cmp_ne_u32_e32 vcc, v10, v15
	v_cndmask_b32_e64 v10, 0, 1, vcc
	v_cmp_ne_u32_e32 vcc, v13, v17
	v_cndmask_b32_e64 v13, 0, 1, vcc
	v_or_b32_e32 v10, v19, v10
	v_cmp_gt_i32_e32 vcc, 1, v11
	v_cndmask_b32_e32 v10, v16, v10, vcc
	v_or_b32_e32 v13, v20, v13
	v_cmp_gt_i32_e32 vcc, 1, v14
	v_and_b32_e32 v15, 7, v10
	v_cndmask_b32_e32 v13, v18, v13, vcc
	v_cmp_lt_i32_e32 vcc, 5, v15
	v_cmp_eq_u32_e64 s[0:1], 3, v15
	v_lshrrev_b32_e32 v10, 2, v10
	v_and_b32_e32 v16, 7, v13
	s_or_b64 vcc, s[0:1], vcc
	v_cmp_lt_i32_e64 s[2:3], 5, v16
	v_cmp_eq_u32_e64 s[4:5], 3, v16
	v_addc_co_u32_e32 v10, vcc, 0, v10, vcc
	v_lshrrev_b32_e32 v13, 2, v13
	s_or_b64 vcc, s[4:5], s[2:3]
	v_addc_co_u32_e32 v13, vcc, 0, v13, vcc
	v_cmp_gt_i32_e32 vcc, 31, v11
	v_cndmask_b32_e32 v10, v2, v10, vcc
	v_cmp_gt_i32_e32 vcc, 31, v14
	v_lshl_or_b32 v9, v9, 9, v2
	v_cndmask_b32_e32 v13, v2, v13, vcc
	v_cmp_eq_u32_e32 vcc, s18, v11
	v_lshl_or_b32 v6, v6, 9, v2
	v_cndmask_b32_e32 v9, v10, v9, vcc
	v_cmp_eq_u32_e32 vcc, s18, v14
	v_lshrrev_b32_e32 v7, 16, v7
	v_cndmask_b32_e32 v6, v13, v6, vcc
	v_and_or_b32 v9, v12, s17, v9
	v_and_or_b32 v6, v7, s17, v6
	v_and_b32_e32 v7, 0xffff, v9
	v_lshl_or_b32 v6, v6, 16, v7
	global_store_dword v[4:5], v6, off
	global_load_dword v6, v31, s[6:7] offset:128
	v_lshrrev_b32_e32 v7, 16, v8
	v_mad_u64_u32 v[4:5], s[0:1], s8, v0, 0
	s_waitcnt vmcnt(0)
	v_mul_f16_sdwa v9, v7, v6 dst_sel:DWORD dst_unused:UNUSED_PAD src0_sel:DWORD src1_sel:WORD_1
	v_fma_f16 v9, v8, v6, v9
	v_cvt_f32_f16_e32 v9, v9
	v_mul_f16_sdwa v8, v8, v6 dst_sel:DWORD dst_unused:UNUSED_PAD src0_sel:DWORD src1_sel:WORD_1
	v_fma_f16 v6, v6, v7, -v8
	v_cvt_f32_f16_e32 v8, v6
	v_cvt_f64_f32_e32 v[6:7], v9
	v_cvt_f64_f32_e32 v[8:9], v8
	v_mul_f64 v[6:7], v[6:7], s[14:15]
	v_mul_f64 v[8:9], v[8:9], s[14:15]
	v_mad_u64_u32 v[10:11], s[0:1], s9, v0, v[5:6]
	v_and_or_b32 v0, v7, s16, v6
	v_and_or_b32 v8, v9, s16, v8
	v_cmp_ne_u32_e32 vcc, 0, v0
	v_mov_b32_e32 v5, v10
	v_lshrrev_b32_e32 v6, 8, v7
	v_bfe_u32 v10, v7, 20, 11
	v_cndmask_b32_e64 v0, 0, 1, vcc
	v_cmp_ne_u32_e32 vcc, 0, v8
	v_lshrrev_b32_e32 v11, 8, v9
	v_bfe_u32 v12, v9, 20, 11
	v_sub_u32_e32 v13, 0x3f1, v10
	v_cndmask_b32_e64 v8, 0, 1, vcc
	v_and_or_b32 v0, v6, s10, v0
	v_sub_u32_e32 v14, 0x3f1, v12
	v_med3_i32 v6, v13, 0, 13
	v_and_or_b32 v8, v11, s10, v8
	v_or_b32_e32 v13, 0x1000, v0
	v_add_u32_e32 v10, 0xfffffc10, v10
	v_med3_i32 v11, v14, 0, 13
	v_cmp_ne_u32_e32 vcc, 0, v0
	v_or_b32_e32 v15, 0x1000, v8
	v_lshrrev_b32_e32 v17, v6, v13
	v_add_u32_e32 v12, 0xfffffc10, v12
	v_lshl_or_b32 v14, v10, 12, v0
	v_cndmask_b32_e64 v0, 0, 1, vcc
	v_cmp_ne_u32_e32 vcc, 0, v8
	v_lshrrev_b32_e32 v18, v11, v15
	v_lshlrev_b32_e32 v6, v6, v17
	v_lshl_or_b32 v16, v12, 12, v8
	v_cndmask_b32_e64 v8, 0, 1, vcc
	v_lshlrev_b32_e32 v11, v11, v18
	v_cmp_ne_u32_e32 vcc, v6, v13
	v_cndmask_b32_e64 v6, 0, 1, vcc
	v_cmp_ne_u32_e32 vcc, v11, v15
	v_cndmask_b32_e64 v11, 0, 1, vcc
	v_or_b32_e32 v6, v17, v6
	v_cmp_gt_i32_e32 vcc, 1, v10
	v_cndmask_b32_e32 v6, v14, v6, vcc
	v_or_b32_e32 v11, v18, v11
	v_cmp_gt_i32_e32 vcc, 1, v12
	v_and_b32_e32 v13, 7, v6
	v_cndmask_b32_e32 v11, v16, v11, vcc
	v_cmp_lt_i32_e32 vcc, 5, v13
	v_cmp_eq_u32_e64 s[0:1], 3, v13
	v_lshrrev_b32_e32 v6, 2, v6
	v_and_b32_e32 v14, 7, v11
	s_or_b64 vcc, s[0:1], vcc
	v_cmp_lt_i32_e64 s[2:3], 5, v14
	v_cmp_eq_u32_e64 s[4:5], 3, v14
	v_addc_co_u32_e32 v6, vcc, 0, v6, vcc
	v_lshrrev_b32_e32 v11, 2, v11
	s_or_b64 vcc, s[4:5], s[2:3]
	v_addc_co_u32_e32 v11, vcc, 0, v11, vcc
	v_cmp_gt_i32_e32 vcc, 31, v10
	v_cndmask_b32_e32 v6, v2, v6, vcc
	v_cmp_gt_i32_e32 vcc, 31, v12
	v_lshl_or_b32 v0, v0, 9, v2
	v_lshl_or_b32 v8, v8, 9, v2
	v_cndmask_b32_e32 v2, v2, v11, vcc
	v_cmp_eq_u32_e32 vcc, s18, v10
	v_lshrrev_b32_e32 v7, 16, v7
	v_cndmask_b32_e32 v0, v6, v0, vcc
	v_cmp_eq_u32_e32 vcc, s18, v12
	v_lshlrev_b64 v[4:5], 2, v[4:5]
	v_lshrrev_b32_e32 v9, 16, v9
	v_cndmask_b32_e32 v2, v2, v8, vcc
	v_and_or_b32 v0, v7, s17, v0
	v_and_or_b32 v2, v9, s17, v2
	v_and_b32_e32 v0, 0xffff, v0
	v_lshl_or_b32 v2, v2, 16, v0
	v_add_co_u32_e32 v0, vcc, v1, v4
	v_addc_co_u32_e32 v1, vcc, v3, v5, vcc
	global_store_dword v[0:1], v2, off
.LBB0_15:
	s_endpgm
	.section	.rodata,"a",@progbits
	.p2align	6, 0x0
	.amdhsa_kernel bluestein_single_back_len34_dim1_half_op_CI_CI
		.amdhsa_group_segment_fixed_size 2040
		.amdhsa_private_segment_fixed_size 0
		.amdhsa_kernarg_size 104
		.amdhsa_user_sgpr_count 6
		.amdhsa_user_sgpr_private_segment_buffer 1
		.amdhsa_user_sgpr_dispatch_ptr 0
		.amdhsa_user_sgpr_queue_ptr 0
		.amdhsa_user_sgpr_kernarg_segment_ptr 1
		.amdhsa_user_sgpr_dispatch_id 0
		.amdhsa_user_sgpr_flat_scratch_init 0
		.amdhsa_user_sgpr_private_segment_size 0
		.amdhsa_uses_dynamic_stack 0
		.amdhsa_system_sgpr_private_segment_wavefront_offset 0
		.amdhsa_system_sgpr_workgroup_id_x 1
		.amdhsa_system_sgpr_workgroup_id_y 0
		.amdhsa_system_sgpr_workgroup_id_z 0
		.amdhsa_system_sgpr_workgroup_info 0
		.amdhsa_system_vgpr_workitem_id 0
		.amdhsa_next_free_vgpr 206
		.amdhsa_next_free_sgpr 35
		.amdhsa_reserve_vcc 1
		.amdhsa_reserve_flat_scratch 0
		.amdhsa_float_round_mode_32 0
		.amdhsa_float_round_mode_16_64 0
		.amdhsa_float_denorm_mode_32 3
		.amdhsa_float_denorm_mode_16_64 3
		.amdhsa_dx10_clamp 1
		.amdhsa_ieee_mode 1
		.amdhsa_fp16_overflow 0
		.amdhsa_exception_fp_ieee_invalid_op 0
		.amdhsa_exception_fp_denorm_src 0
		.amdhsa_exception_fp_ieee_div_zero 0
		.amdhsa_exception_fp_ieee_overflow 0
		.amdhsa_exception_fp_ieee_underflow 0
		.amdhsa_exception_fp_ieee_inexact 0
		.amdhsa_exception_int_div_zero 0
	.end_amdhsa_kernel
	.text
.Lfunc_end0:
	.size	bluestein_single_back_len34_dim1_half_op_CI_CI, .Lfunc_end0-bluestein_single_back_len34_dim1_half_op_CI_CI
                                        ; -- End function
	.section	.AMDGPU.csdata,"",@progbits
; Kernel info:
; codeLenInByte = 23004
; NumSgprs: 39
; NumVgprs: 206
; ScratchSize: 0
; MemoryBound: 0
; FloatMode: 240
; IeeeMode: 1
; LDSByteSize: 2040 bytes/workgroup (compile time only)
; SGPRBlocks: 4
; VGPRBlocks: 51
; NumSGPRsForWavesPerEU: 39
; NumVGPRsForWavesPerEU: 206
; Occupancy: 1
; WaveLimiterHint : 1
; COMPUTE_PGM_RSRC2:SCRATCH_EN: 0
; COMPUTE_PGM_RSRC2:USER_SGPR: 6
; COMPUTE_PGM_RSRC2:TRAP_HANDLER: 0
; COMPUTE_PGM_RSRC2:TGID_X_EN: 1
; COMPUTE_PGM_RSRC2:TGID_Y_EN: 0
; COMPUTE_PGM_RSRC2:TGID_Z_EN: 0
; COMPUTE_PGM_RSRC2:TIDIG_COMP_CNT: 0
	.type	__hip_cuid_41becb40b1b11a4c,@object ; @__hip_cuid_41becb40b1b11a4c
	.section	.bss,"aw",@nobits
	.globl	__hip_cuid_41becb40b1b11a4c
__hip_cuid_41becb40b1b11a4c:
	.byte	0                               ; 0x0
	.size	__hip_cuid_41becb40b1b11a4c, 1

	.ident	"AMD clang version 19.0.0git (https://github.com/RadeonOpenCompute/llvm-project roc-6.4.0 25133 c7fe45cf4b819c5991fe208aaa96edf142730f1d)"
	.section	".note.GNU-stack","",@progbits
	.addrsig
	.addrsig_sym __hip_cuid_41becb40b1b11a4c
	.amdgpu_metadata
---
amdhsa.kernels:
  - .args:
      - .actual_access:  read_only
        .address_space:  global
        .offset:         0
        .size:           8
        .value_kind:     global_buffer
      - .actual_access:  read_only
        .address_space:  global
        .offset:         8
        .size:           8
        .value_kind:     global_buffer
      - .actual_access:  read_only
        .address_space:  global
        .offset:         16
        .size:           8
        .value_kind:     global_buffer
      - .actual_access:  read_only
        .address_space:  global
        .offset:         24
        .size:           8
        .value_kind:     global_buffer
      - .actual_access:  read_only
        .address_space:  global
        .offset:         32
        .size:           8
        .value_kind:     global_buffer
      - .offset:         40
        .size:           8
        .value_kind:     by_value
      - .address_space:  global
        .offset:         48
        .size:           8
        .value_kind:     global_buffer
      - .address_space:  global
        .offset:         56
        .size:           8
        .value_kind:     global_buffer
      - .address_space:  global
        .offset:         64
        .size:           8
        .value_kind:     global_buffer
      - .address_space:  global
        .offset:         72
        .size:           8
        .value_kind:     global_buffer
      - .offset:         80
        .size:           4
        .value_kind:     by_value
      - .address_space:  global
        .offset:         88
        .size:           8
        .value_kind:     global_buffer
      - .address_space:  global
        .offset:         96
        .size:           8
        .value_kind:     global_buffer
    .group_segment_fixed_size: 2040
    .kernarg_segment_align: 8
    .kernarg_segment_size: 104
    .language:       OpenCL C
    .language_version:
      - 2
      - 0
    .max_flat_workgroup_size: 255
    .name:           bluestein_single_back_len34_dim1_half_op_CI_CI
    .private_segment_fixed_size: 0
    .sgpr_count:     39
    .sgpr_spill_count: 0
    .symbol:         bluestein_single_back_len34_dim1_half_op_CI_CI.kd
    .uniform_work_group_size: 1
    .uses_dynamic_stack: false
    .vgpr_count:     206
    .vgpr_spill_count: 0
    .wavefront_size: 64
amdhsa.target:   amdgcn-amd-amdhsa--gfx906
amdhsa.version:
  - 1
  - 2
...

	.end_amdgpu_metadata
